;; amdgpu-corpus repo=ROCm/rocFFT kind=compiled arch=gfx1201 opt=O3
	.text
	.amdgcn_target "amdgcn-amd-amdhsa--gfx1201"
	.amdhsa_code_object_version 6
	.protected	bluestein_single_fwd_len1792_dim1_half_op_CI_CI ; -- Begin function bluestein_single_fwd_len1792_dim1_half_op_CI_CI
	.globl	bluestein_single_fwd_len1792_dim1_half_op_CI_CI
	.p2align	8
	.type	bluestein_single_fwd_len1792_dim1_half_op_CI_CI,@function
bluestein_single_fwd_len1792_dim1_half_op_CI_CI: ; @bluestein_single_fwd_len1792_dim1_half_op_CI_CI
; %bb.0:
	s_load_b128 s[12:15], s[0:1], 0x28
	v_mul_u32_u24_e32 v1, 0x125, v0
	s_mov_b32 s2, exec_lo
	v_mov_b32_e32 v21, 0
	s_delay_alu instid0(VALU_DEP_2) | instskip(NEXT) | instid1(VALU_DEP_1)
	v_lshrrev_b32_e32 v1, 16, v1
	v_add_nc_u32_e32 v20, ttmp9, v1
	s_wait_kmcnt 0x0
	s_delay_alu instid0(VALU_DEP_1)
	v_cmpx_gt_u64_e64 s[12:13], v[20:21]
	s_cbranch_execz .LBB0_10
; %bb.1:
	s_clause 0x1
	s_load_b128 s[4:7], s[0:1], 0x18
	s_load_b128 s[8:11], s[0:1], 0x0
	v_mul_lo_u16 v1, 0xe0, v1
	s_load_b64 s[0:1], s[0:1], 0x38
                                        ; implicit-def: $vgpr92
                                        ; implicit-def: $vgpr93
                                        ; implicit-def: $vgpr91
                                        ; implicit-def: $vgpr94
                                        ; implicit-def: $vgpr95
                                        ; implicit-def: $vgpr96
                                        ; implicit-def: $vgpr97
	s_delay_alu instid0(VALU_DEP_1) | instskip(NEXT) | instid1(VALU_DEP_1)
	v_sub_nc_u16 v0, v0, v1
	v_and_b32_e32 v48, 0xffff, v0
	s_delay_alu instid0(VALU_DEP_1)
	v_lshlrev_b32_e32 v50, 2, v48
	v_lshlrev_b32_e32 v60, 4, v48
	s_wait_kmcnt 0x0
	s_load_b128 s[16:19], s[4:5], 0x0
	s_clause 0x7
	global_load_b32 v51, v50, s[8:9]
	global_load_b32 v39, v50, s[8:9] offset:6272
	global_load_b32 v47, v50, s[8:9] offset:5376
	global_load_b32 v41, v50, s[8:9] offset:4480
	global_load_b32 v52, v50, s[8:9] offset:3584
	global_load_b32 v43, v50, s[8:9] offset:2688
	global_load_b32 v53, v50, s[8:9] offset:1792
	global_load_b32 v45, v50, s[8:9] offset:896
	s_wait_kmcnt 0x0
	v_mad_co_u64_u32 v[1:2], null, s18, v20, 0
	v_mad_co_u64_u32 v[3:4], null, s16, v48, 0
	s_mul_u64 s[2:3], s[16:17], 0x700
	s_mul_i32 s4, s17, 0xffffee80
	s_delay_alu instid0(SALU_CYCLE_1) | instskip(NEXT) | instid1(VALU_DEP_1)
	s_sub_co_i32 s4, s4, s16
	v_mad_co_u64_u32 v[5:6], null, s19, v20, v[2:3]
	s_delay_alu instid0(VALU_DEP_1) | instskip(SKIP_1) | instid1(VALU_DEP_1)
	v_mad_co_u64_u32 v[6:7], null, s17, v48, v[4:5]
	v_mov_b32_e32 v2, v5
	v_lshlrev_b64_e32 v[1:2], 2, v[1:2]
	s_delay_alu instid0(VALU_DEP_3) | instskip(NEXT) | instid1(VALU_DEP_2)
	v_mov_b32_e32 v4, v6
	v_add_co_u32 v1, vcc_lo, s14, v1
	s_delay_alu instid0(VALU_DEP_2) | instskip(NEXT) | instid1(VALU_DEP_4)
	v_lshlrev_b64_e32 v[3:4], 2, v[3:4]
	v_add_co_ci_u32_e32 v2, vcc_lo, s15, v2, vcc_lo
	s_delay_alu instid0(VALU_DEP_2) | instskip(SKIP_1) | instid1(VALU_DEP_2)
	v_add_co_u32 v1, vcc_lo, v1, v3
	s_wait_alu 0xfffd
	v_add_co_ci_u32_e32 v2, vcc_lo, v2, v4, vcc_lo
	s_delay_alu instid0(VALU_DEP_2) | instskip(SKIP_1) | instid1(VALU_DEP_2)
	v_add_co_u32 v3, vcc_lo, v1, s2
	s_wait_alu 0xfffd
	v_add_co_ci_u32_e32 v4, vcc_lo, s3, v2, vcc_lo
	global_load_b32 v7, v[1:2], off
	v_add_co_u32 v5, vcc_lo, v3, s2
	global_load_b32 v8, v[3:4], off
	s_wait_alu 0xfffd
	v_add_co_ci_u32_e32 v6, vcc_lo, s3, v4, vcc_lo
	v_add_co_u32 v1, vcc_lo, v5, s2
	s_wait_alu 0xfffd
	s_delay_alu instid0(VALU_DEP_2)
	v_add_co_ci_u32_e32 v2, vcc_lo, s3, v6, vcc_lo
	global_load_b32 v5, v[5:6], off
	v_mad_co_u64_u32 v[3:4], null, 0xffffee80, s16, v[1:2]
	global_load_b32 v6, v[1:2], off
	v_add_nc_u32_e32 v4, s4, v4
	global_load_b32 v9, v[3:4], off
	v_add_co_u32 v1, vcc_lo, v3, s2
	s_wait_alu 0xfffd
	v_add_co_ci_u32_e32 v2, vcc_lo, s3, v4, vcc_lo
	s_delay_alu instid0(VALU_DEP_2) | instskip(SKIP_1) | instid1(VALU_DEP_2)
	v_add_co_u32 v3, vcc_lo, v1, s2
	s_wait_alu 0xfffd
	v_add_co_ci_u32_e32 v4, vcc_lo, s3, v2, vcc_lo
	global_load_b32 v10, v[1:2], off
	v_add_co_u32 v1, vcc_lo, v3, s2
	s_wait_alu 0xfffd
	v_add_co_ci_u32_e32 v2, vcc_lo, s3, v4, vcc_lo
	global_load_b32 v11, v[3:4], off
	global_load_b32 v1, v[1:2], off
	v_add_nc_u32_e32 v2, 0x700, v50
	v_add_nc_u32_e32 v3, 0xe00, v50
	;; [unrolled: 1-line block ×3, first 2 shown]
	s_load_b128 s[4:7], s[6:7], 0x0
	v_cmp_gt_u16_e32 vcc_lo, 32, v0
	s_wait_loadcnt 0xe
	v_lshrrev_b32_e32 v40, 16, v39
	v_lshrrev_b32_e32 v56, 16, v51
	s_wait_loadcnt 0xb
	v_lshrrev_b32_e32 v54, 16, v52
	s_wait_loadcnt 0x9
	v_lshrrev_b32_e32 v55, 16, v53
	v_lshrrev_b32_e32 v49, 16, v47
	s_wait_loadcnt 0x8
	v_lshrrev_b32_e32 v46, 16, v45
	v_lshrrev_b32_e32 v44, 16, v43
	;; [unrolled: 1-line block ×3, first 2 shown]
	s_wait_loadcnt 0x7
	v_lshrrev_b32_e32 v12, 16, v7
	v_mul_f16_e32 v13, v56, v7
	s_wait_loadcnt 0x6
	v_lshrrev_b32_e32 v15, 16, v8
	s_delay_alu instid0(VALU_DEP_3) | instskip(NEXT) | instid1(VALU_DEP_3)
	v_mul_f16_e32 v14, v56, v12
	v_fma_f16 v12, v51, v12, -v13
	v_mul_f16_e32 v13, v55, v8
	s_delay_alu instid0(VALU_DEP_3)
	v_fmac_f16_e32 v14, v51, v7
	v_mul_f16_e32 v7, v55, v15
	s_wait_loadcnt 0x5
	v_lshrrev_b32_e32 v16, 16, v5
	v_mul_f16_e32 v17, v54, v5
	v_fma_f16 v13, v53, v15, -v13
	v_pack_b32_f16 v12, v14, v12
	v_fmac_f16_e32 v7, v53, v8
	v_mul_f16_e32 v8, v54, v16
	v_fma_f16 v14, v52, v16, -v17
	s_wait_loadcnt 0x4
	v_lshrrev_b32_e32 v15, 16, v6
	v_mul_f16_e32 v16, v49, v6
	v_pack_b32_f16 v7, v7, v13
	v_fmac_f16_e32 v8, v52, v5
	s_delay_alu instid0(VALU_DEP_4) | instskip(NEXT) | instid1(VALU_DEP_4)
	v_mul_f16_e32 v13, v49, v15
	v_fma_f16 v15, v47, v15, -v16
	s_wait_loadcnt 0x3
	v_lshrrev_b32_e32 v5, 16, v9
	v_mul_f16_e32 v16, v46, v9
	v_pack_b32_f16 v8, v8, v14
	v_fmac_f16_e32 v13, v47, v6
	s_delay_alu instid0(VALU_DEP_4) | instskip(NEXT) | instid1(VALU_DEP_4)
	v_mul_f16_e32 v14, v46, v5
	v_fma_f16 v5, v45, v5, -v16
	s_wait_loadcnt 0x2
	v_lshrrev_b32_e32 v6, 16, v10
	v_mul_f16_e32 v16, v44, v10
	v_fmac_f16_e32 v14, v45, v9
	s_delay_alu instid0(VALU_DEP_3)
	v_mul_f16_e32 v17, v44, v6
	s_wait_loadcnt 0x1
	v_lshrrev_b32_e32 v9, 16, v11
	s_wait_loadcnt 0x0
	v_lshrrev_b32_e32 v18, 16, v1
	v_fma_f16 v6, v43, v6, -v16
	v_mul_f16_e32 v16, v42, v11
	v_mul_f16_e32 v21, v40, v1
	;; [unrolled: 1-line block ×4, first 2 shown]
	v_fmac_f16_e32 v17, v43, v10
	v_fma_f16 v9, v41, v9, -v16
	v_fma_f16 v10, v39, v18, -v21
	v_fmac_f16_e32 v19, v41, v11
	v_fmac_f16_e32 v22, v39, v1
	v_pack_b32_f16 v1, v13, v15
	v_pack_b32_f16 v5, v14, v5
	;; [unrolled: 1-line block ×5, first 2 shown]
	ds_store_b32 v50, v7 offset:1792
	ds_store_b32 v50, v8 offset:3584
	;; [unrolled: 1-line block ×3, first 2 shown]
	ds_store_2addr_b32 v50, v12, v5 offset1:224
	ds_store_b32 v50, v6 offset:2688
	ds_store_b32 v50, v9 offset:4480
	;; [unrolled: 1-line block ×3, first 2 shown]
	global_wb scope:SCOPE_SE
	s_wait_dscnt 0x0
	s_wait_kmcnt 0x0
	s_barrier_signal -1
	s_barrier_wait -1
	global_inv scope:SCOPE_SE
	ds_load_2addr_b32 v[5:6], v50 offset1:224
	ds_load_2addr_b32 v[7:8], v2 offset1:224
	;; [unrolled: 1-line block ×4, first 2 shown]
	v_and_b32_e32 v17, 3, v48
	v_add_co_u32 v1, null, 0xe0, v48
	global_wb scope:SCOPE_SE
	s_wait_dscnt 0x0
	s_barrier_signal -1
	v_mad_co_u64_u32 v[13:14], null, v17, 12, s[10:11]
	v_lshlrev_b32_e32 v59, 4, v1
	s_barrier_wait -1
	global_inv scope:SCOPE_SE
	v_pk_add_f16 v9, v5, v9 neg_lo:[0,1] neg_hi:[0,1]
	v_pk_add_f16 v11, v7, v11 neg_lo:[0,1] neg_hi:[0,1]
	;; [unrolled: 1-line block ×4, first 2 shown]
	s_delay_alu instid0(VALU_DEP_4) | instskip(NEXT) | instid1(VALU_DEP_4)
	v_lshrrev_b32_e32 v16, 16, v9
	v_lshrrev_b32_e32 v15, 16, v11
	s_delay_alu instid0(VALU_DEP_4) | instskip(NEXT) | instid1(VALU_DEP_4)
	v_lshrrev_b32_e32 v19, 16, v10
	v_lshrrev_b32_e32 v18, 16, v12
	v_pk_fma_f16 v5, v5, 2.0, v9 op_sel_hi:[1,0,1] neg_lo:[0,0,1] neg_hi:[0,0,1]
	v_pk_fma_f16 v7, v7, 2.0, v11 op_sel_hi:[1,0,1] neg_lo:[0,0,1] neg_hi:[0,0,1]
	;; [unrolled: 1-line block ×4, first 2 shown]
	v_sub_f16_e32 v15, v9, v15
	v_add_f16_e32 v21, v16, v11
	v_sub_f16_e32 v18, v10, v18
	v_add_f16_e32 v12, v19, v12
	v_pk_add_f16 v7, v5, v7 neg_lo:[0,1] neg_hi:[0,1]
	v_pk_add_f16 v11, v6, v8 neg_lo:[0,1] neg_hi:[0,1]
	v_fma_f16 v22, v9, 2.0, -v15
	v_fma_f16 v16, v16, 2.0, -v21
	;; [unrolled: 1-line block ×4, first 2 shown]
	v_pk_fma_f16 v5, v5, 2.0, v7 op_sel_hi:[1,0,1] neg_lo:[0,0,1] neg_hi:[0,0,1]
	v_pk_fma_f16 v9, v6, 2.0, v11 op_sel_hi:[1,0,1] neg_lo:[0,0,1] neg_hi:[0,0,1]
	v_pack_b32_f16 v8, v15, v21
	v_pack_b32_f16 v6, v22, v16
	;; [unrolled: 1-line block ×4, first 2 shown]
	ds_store_b128 v60, v[5:8]
	ds_store_b128 v59, v[9:12]
	global_wb scope:SCOPE_SE
	s_wait_dscnt 0x0
	s_barrier_signal -1
	s_barrier_wait -1
	global_inv scope:SCOPE_SE
	global_load_b96 v[8:10], v[13:14], off
	ds_load_2addr_b32 v[5:6], v50 offset1:224
	ds_load_2addr_b32 v[11:12], v2 offset1:224
	;; [unrolled: 1-line block ×4, first 2 shown]
	v_lshlrev_b32_e32 v7, 2, v1
	v_and_or_b32 v19, 0x3f0, v50, v17
	v_and_b32_e32 v21, 15, v48
	global_wb scope:SCOPE_SE
	s_wait_loadcnt_dscnt 0x0
	s_barrier_signal -1
	v_and_or_b32 v22, 0x7f0, v7, v17
	v_lshlrev_b32_e32 v58, 2, v19
	v_mad_co_u64_u32 v[17:18], null, v21, 12, s[10:11]
	s_barrier_wait -1
	s_delay_alu instid0(VALU_DEP_3)
	v_lshlrev_b32_e32 v57, 2, v22
	global_inv scope:SCOPE_SE
	v_lshrrev_b32_e32 v19, 16, v5
	v_lshrrev_b32_e32 v22, 16, v11
	;; [unrolled: 1-line block ×11, first 2 shown]
	s_delay_alu instid0(VALU_DEP_3) | instskip(SKIP_1) | instid1(VALU_DEP_4)
	v_mul_f16_e32 v29, v22, v71
	v_mul_f16_e32 v30, v11, v71
	;; [unrolled: 1-line block ×12, first 2 shown]
	v_fma_f16 v11, v11, v8, -v29
	v_fmac_f16_e32 v30, v22, v8
	v_fma_f16 v13, v13, v9, -v31
	v_fmac_f16_e32 v32, v23, v9
	;; [unrolled: 2-line block ×6, first 2 shown]
	v_sub_f16_e32 v13, v5, v13
	v_sub_f16_e32 v22, v19, v32
	;; [unrolled: 1-line block ×8, first 2 shown]
	v_fma_f16 v5, v5, 2.0, -v13
	v_fma_f16 v19, v19, 2.0, -v22
	;; [unrolled: 1-line block ×8, first 2 shown]
	v_sub_f16_e32 v23, v13, v23
	v_add_f16_e32 v15, v22, v15
	v_sub_f16_e32 v11, v5, v11
	v_sub_f16_e32 v27, v19, v27
	v_sub_f16_e32 v26, v14, v26
	v_add_f16_e32 v16, v24, v16
	v_sub_f16_e32 v12, v6, v12
	v_sub_f16_e32 v28, v25, v28
	v_fma_f16 v13, v13, 2.0, -v23
	v_fma_f16 v22, v22, 2.0, -v15
	;; [unrolled: 1-line block ×6, first 2 shown]
	v_pack_b32_f16 v15, v23, v15
	v_fma_f16 v6, v6, 2.0, -v12
	v_fma_f16 v23, v25, 2.0, -v28
	v_pack_b32_f16 v11, v11, v27
	v_pack_b32_f16 v13, v13, v22
	;; [unrolled: 1-line block ×7, first 2 shown]
	ds_store_2addr_b32 v58, v11, v15 offset0:8 offset1:12
	ds_store_2addr_b32 v58, v5, v13 offset1:4
	ds_store_2addr_b32 v57, v6, v14 offset1:4
	ds_store_2addr_b32 v57, v12, v16 offset0:8 offset1:12
	global_wb scope:SCOPE_SE
	s_wait_dscnt 0x0
	s_barrier_signal -1
	s_barrier_wait -1
	global_inv scope:SCOPE_SE
	global_load_b96 v[11:13], v[17:18], off offset:48
	ds_load_2addr_b32 v[5:6], v50 offset1:224
	ds_load_2addr_b32 v[14:15], v2 offset1:224
	;; [unrolled: 1-line block ×4, first 2 shown]
	v_and_or_b32 v27, 0x7c0, v7, v21
	v_and_b32_e32 v25, 63, v48
	v_and_or_b32 v23, 0x3c0, v50, v21
	v_and_b32_e32 v26, 63, v1
	global_wb scope:SCOPE_SE
	s_wait_loadcnt_dscnt 0x0
	v_lshlrev_b32_e32 v70, 2, v27
	v_mad_co_u64_u32 v[21:22], null, v25, 12, s[10:11]
	v_lshlrev_b32_e32 v69, 2, v23
	v_mad_co_u64_u32 v[23:24], null, v26, 12, s[10:11]
	s_barrier_signal -1
	s_barrier_wait -1
	global_inv scope:SCOPE_SE
	v_and_or_b32 v7, 0x700, v7, v26
	v_lshrrev_b32_e32 v27, 16, v5
	v_lshrrev_b32_e32 v28, 16, v14
	;; [unrolled: 1-line block ×11, first 2 shown]
	s_delay_alu instid0(VALU_DEP_3) | instskip(SKIP_1) | instid1(VALU_DEP_4)
	v_mul_f16_e32 v35, v28, v80
	v_mul_f16_e32 v36, v14, v80
	v_mul_f16_e32 v37, v29, v81
	v_mul_f16_e32 v38, v16, v81
	v_mul_f16_e32 v61, v30, v82
	v_mul_f16_e32 v62, v18, v82
	v_mul_f16_e32 v63, v32, v80
	v_mul_f16_e32 v64, v15, v80
	v_mul_f16_e32 v65, v33, v81
	v_mul_f16_e32 v66, v17, v81
	v_mul_f16_e32 v67, v34, v82
	v_mul_f16_e32 v68, v19, v82
	v_fma_f16 v14, v14, v11, -v35
	v_fmac_f16_e32 v36, v28, v11
	v_fma_f16 v16, v16, v12, -v37
	v_fmac_f16_e32 v38, v29, v12
	;; [unrolled: 2-line block ×6, first 2 shown]
	v_sub_f16_e32 v16, v5, v16
	v_sub_f16_e32 v28, v27, v38
	;; [unrolled: 1-line block ×8, first 2 shown]
	v_fma_f16 v5, v5, 2.0, -v16
	v_fma_f16 v27, v27, 2.0, -v28
	v_fma_f16 v14, v14, 2.0, -v18
	v_fma_f16 v33, v36, 2.0, -v29
	v_fma_f16 v6, v6, 2.0, -v17
	v_fma_f16 v31, v31, 2.0, -v30
	v_fma_f16 v15, v15, 2.0, -v19
	v_fma_f16 v34, v64, 2.0, -v32
	v_sub_f16_e32 v29, v16, v29
	v_add_f16_e32 v18, v28, v18
	v_sub_f16_e32 v14, v5, v14
	v_sub_f16_e32 v33, v27, v33
	;; [unrolled: 1-line block ×3, first 2 shown]
	v_add_f16_e32 v19, v30, v19
	v_sub_f16_e32 v15, v6, v15
	v_sub_f16_e32 v34, v31, v34
	v_fma_f16 v16, v16, 2.0, -v29
	v_fma_f16 v28, v28, 2.0, -v18
	;; [unrolled: 1-line block ×6, first 2 shown]
	v_pack_b32_f16 v18, v29, v18
	v_fma_f16 v6, v6, 2.0, -v15
	v_fma_f16 v29, v31, 2.0, -v34
	v_pack_b32_f16 v14, v14, v33
	v_pack_b32_f16 v16, v16, v28
	;; [unrolled: 1-line block ×7, first 2 shown]
	ds_store_2addr_b32 v69, v14, v18 offset0:32 offset1:48
	ds_store_2addr_b32 v69, v5, v16 offset1:16
	ds_store_2addr_b32 v70, v6, v17 offset1:16
	ds_store_2addr_b32 v70, v15, v19 offset0:32 offset1:48
	global_wb scope:SCOPE_SE
	s_wait_dscnt 0x0
	s_barrier_signal -1
	s_barrier_wait -1
	global_inv scope:SCOPE_SE
	s_clause 0x1
	global_load_b96 v[17:19], v[21:22], off offset:240
	global_load_b96 v[14:16], v[23:24], off offset:240
	ds_load_2addr_b32 v[5:6], v50 offset1:224
	ds_load_2addr_b32 v[21:22], v2 offset1:224
	ds_load_2addr_b32 v[2:3], v3 offset1:224
	ds_load_2addr_b32 v[23:24], v4 offset1:224
	v_and_or_b32 v4, 0x300, v50, v25
	v_lshlrev_b32_e32 v66, 2, v7
	global_wb scope:SCOPE_SE
	s_wait_loadcnt_dscnt 0x0
	s_barrier_signal -1
	s_barrier_wait -1
	v_lshlrev_b32_e32 v67, 2, v4
	global_inv scope:SCOPE_SE
	v_lshrrev_b32_e32 v4, 16, v5
	v_lshrrev_b32_e32 v7, 16, v21
	;; [unrolled: 1-line block ×14, first 2 shown]
	v_mul_f16_e32 v31, v7, v79
	v_mul_f16_e32 v32, v21, v79
	;; [unrolled: 1-line block ×12, first 2 shown]
	v_fma_f16 v21, v21, v17, -v31
	v_fmac_f16_e32 v32, v7, v17
	v_fma_f16 v2, v2, v18, -v33
	v_fmac_f16_e32 v34, v25, v18
	;; [unrolled: 2-line block ×6, first 2 shown]
	v_sub_f16_e32 v2, v5, v2
	v_sub_f16_e32 v24, v4, v34
	;; [unrolled: 1-line block ×8, first 2 shown]
	v_fma_f16 v5, v5, 2.0, -v2
	v_fma_f16 v4, v4, 2.0, -v24
	;; [unrolled: 1-line block ×8, first 2 shown]
	v_sub_f16_e32 v30, v2, v25
	v_add_f16_e32 v7, v24, v7
	v_add_f16_e32 v89, v26, v23
	v_sub_f16_e32 v21, v5, v21
	v_sub_f16_e32 v23, v4, v29
	;; [unrolled: 1-line block ×5, first 2 shown]
	v_fma_f16 v2, v2, 2.0, -v30
	v_fma_f16 v24, v24, 2.0, -v7
	;; [unrolled: 1-line block ×8, first 2 shown]
	v_pack_b32_f16 v2, v2, v24
	v_pack_b32_f16 v4, v5, v4
	;; [unrolled: 1-line block ×8, first 2 shown]
	ds_store_2addr_stride64_b32 v67, v4, v2 offset1:1
	ds_store_2addr_stride64_b32 v67, v21, v7 offset0:2 offset1:3
	ds_store_2addr_stride64_b32 v66, v5, v3 offset1:1
	ds_store_2addr_stride64_b32 v66, v6, v29 offset0:2 offset1:3
	global_wb scope:SCOPE_SE
	s_wait_dscnt 0x0
	s_barrier_signal -1
	s_barrier_wait -1
	global_inv scope:SCOPE_SE
	ds_load_2addr_stride64_b32 v[27:28], v50 offset1:4
	ds_load_2addr_stride64_b32 v[37:38], v50 offset0:8 offset1:12
	ds_load_2addr_stride64_b32 v[35:36], v50 offset0:16 offset1:20
	ds_load_b32 v90, v50 offset:6144
	v_add_co_u32 v31, s2, s8, v50
	s_wait_alu 0xf1ff
	v_add_co_ci_u32_e64 v32, null, s9, 0, s2
                                        ; implicit-def: $vgpr30
                                        ; implicit-def: $vgpr34
	s_and_saveexec_b32 s2, vcc_lo
	s_cbranch_execz .LBB0_3
; %bb.2:
	v_add_nc_u32_e32 v0, 0x80, v50
	ds_load_2addr_stride64_b32 v[25:26], v0 offset0:3 offset1:7
	ds_load_2addr_stride64_b32 v[29:30], v0 offset0:11 offset1:15
	;; [unrolled: 1-line block ×3, first 2 shown]
	ds_load_b32 v91, v50 offset:7040
	s_wait_dscnt 0x3
	v_lshrrev_b32_e32 v89, 16, v25
	v_lshrrev_b32_e32 v97, 16, v26
	s_wait_dscnt 0x2
	v_lshrrev_b32_e32 v96, 16, v29
	v_lshrrev_b32_e32 v92, 16, v30
	s_wait_dscnt 0x1
	v_lshrrev_b32_e32 v95, 16, v33
	v_lshrrev_b32_e32 v93, 16, v34
	s_wait_dscnt 0x0
	v_lshrrev_b32_e32 v94, 16, v91
.LBB0_3:
	s_wait_alu 0xfffe
	s_or_b32 exec_lo, exec_lo, s2
	v_mad_co_u64_u32 v[2:3], null, v48, 24, s[10:11]
	v_and_b32_e32 v0, 0xff, v1
	s_wait_dscnt 0x3
	v_lshrrev_b32_e32 v99, 16, v28
	s_wait_dscnt 0x2
	v_lshrrev_b32_e32 v100, 16, v37
	v_lshrrev_b32_e32 v101, 16, v38
	s_wait_dscnt 0x1
	v_lshrrev_b32_e32 v102, 16, v35
	v_mad_co_u64_u32 v[21:22], null, v0, 24, s[10:11]
	s_clause 0x1
	global_load_b128 v[4:7], v[2:3], off offset:1008
	global_load_b64 v[23:24], v[2:3], off offset:1024
	v_lshrrev_b32_e32 v103, 16, v36
	s_wait_dscnt 0x0
	v_lshrrev_b32_e32 v104, 16, v90
	v_lshrrev_b32_e32 v98, 16, v27
	s_clause 0x1
	global_load_b128 v[0:3], v[21:22], off offset:1008
	global_load_b64 v[21:22], v[21:22], off offset:1024
	s_wait_loadcnt 0x3
	v_lshrrev_b32_e32 v88, 16, v4
	v_lshrrev_b32_e32 v87, 16, v5
	v_lshrrev_b32_e32 v86, 16, v6
	v_lshrrev_b32_e32 v84, 16, v7
	s_wait_loadcnt 0x2
	v_lshrrev_b32_e32 v83, 16, v23
	v_lshrrev_b32_e32 v85, 16, v24
	v_mul_f16_e32 v105, v99, v88
	v_mul_f16_e32 v106, v28, v88
	v_mul_f16_e32 v107, v100, v87
	v_mul_f16_e32 v108, v37, v87
	v_mul_f16_e32 v109, v101, v86
	v_mul_f16_e32 v110, v38, v86
	v_mul_f16_e32 v111, v102, v84
	v_mul_f16_e32 v112, v35, v84
	v_mul_f16_e32 v113, v103, v83
	v_mul_f16_e32 v114, v36, v83
	v_mul_f16_e32 v115, v104, v85
	v_mul_f16_e32 v116, v90, v85
	s_wait_loadcnt 0x1
	v_lshrrev_b32_e32 v65, 16, v0
	v_lshrrev_b32_e32 v63, 16, v1
	;; [unrolled: 1-line block ×4, first 2 shown]
	s_wait_loadcnt 0x0
	v_lshrrev_b32_e32 v64, 16, v21
	v_lshrrev_b32_e32 v68, 16, v22
	v_fma_f16 v28, v28, v4, -v105
	v_fmac_f16_e32 v106, v99, v4
	v_fma_f16 v37, v37, v5, -v107
	v_fmac_f16_e32 v108, v100, v5
	;; [unrolled: 2-line block ×6, first 2 shown]
	v_mul_f16_e32 v99, v97, v65
	v_mul_f16_e32 v100, v26, v65
	;; [unrolled: 1-line block ×12, first 2 shown]
	v_fma_f16 v26, v26, v0, -v99
	v_fmac_f16_e32 v100, v97, v0
	v_fma_f16 v29, v29, v1, -v101
	v_fmac_f16_e32 v102, v96, v1
	v_fmac_f16_e32 v104, v92, v2
	;; [unrolled: 1-line block ×3, first 2 shown]
	v_fma_f16 v34, v34, v21, -v109
	v_fmac_f16_e32 v111, v93, v21
	v_fma_f16 v91, v91, v22, -v113
	v_fmac_f16_e32 v115, v94, v22
	v_add_f16_e32 v92, v28, v90
	v_add_f16_e32 v93, v106, v116
	v_sub_f16_e32 v28, v28, v90
	v_sub_f16_e32 v90, v106, v116
	v_add_f16_e32 v94, v37, v36
	v_add_f16_e32 v95, v108, v114
	v_sub_f16_e32 v36, v37, v36
	v_sub_f16_e32 v37, v108, v114
	;; [unrolled: 4-line block ×3, first 2 shown]
	v_fma_f16 v30, v30, v2, -v103
	v_fma_f16 v33, v33, v3, -v105
	v_add_f16_e32 v99, v94, v92
	v_add_f16_e32 v101, v95, v93
	v_sub_f16_e32 v103, v94, v92
	v_sub_f16_e32 v105, v95, v93
	;; [unrolled: 1-line block ×6, first 2 shown]
	v_add_f16_e32 v106, v35, v36
	v_add_f16_e32 v108, v38, v37
	v_sub_f16_e32 v109, v35, v36
	v_sub_f16_e32 v110, v38, v37
	;; [unrolled: 1-line block ×3, first 2 shown]
	v_add_f16_e32 v112, v26, v91
	v_add_f16_e32 v113, v100, v115
	v_sub_f16_e32 v26, v26, v91
	v_sub_f16_e32 v91, v100, v115
	v_add_f16_e32 v100, v29, v34
	v_add_f16_e32 v114, v102, v111
	v_sub_f16_e32 v35, v28, v35
	v_sub_f16_e32 v38, v90, v38
	;; [unrolled: 1-line block ×5, first 2 shown]
	v_add_f16_e32 v102, v30, v33
	v_add_f16_e32 v111, v104, v107
	v_sub_f16_e32 v30, v33, v30
	v_sub_f16_e32 v33, v107, v104
	v_add_f16_e32 v96, v96, v99
	v_add_f16_e32 v97, v97, v101
	;; [unrolled: 1-line block ×4, first 2 shown]
	v_mul_f16_e32 v92, 0x3a52, v92
	v_mul_f16_e32 v93, 0x3a52, v93
	;; [unrolled: 1-line block ×7, first 2 shown]
	v_add_f16_e32 v109, v100, v112
	v_add_f16_e32 v110, v114, v113
	v_mul_f16_e32 v107, 0x3b00, v36
	v_sub_f16_e32 v115, v100, v112
	v_sub_f16_e32 v116, v114, v113
	;; [unrolled: 1-line block ×6, first 2 shown]
	v_add_f16_e32 v117, v30, v29
	v_add_f16_e32 v118, v33, v34
	v_sub_f16_e32 v119, v30, v29
	v_sub_f16_e32 v120, v33, v34
	;; [unrolled: 1-line block ×4, first 2 shown]
	v_add_f16_e32 v27, v27, v96
	v_add_f16_e32 v98, v98, v97
	v_fmamk_f16 v94, v94, 0x2b26, v92
	v_fmamk_f16 v95, v95, 0x2b26, v93
	v_fma_f16 v99, v103, 0x39e0, -v99
	v_fma_f16 v101, v105, 0x39e0, -v101
	;; [unrolled: 1-line block ×4, first 2 shown]
	v_fmamk_f16 v103, v35, 0x3574, v104
	v_fmamk_f16 v105, v38, 0x3574, v106
	v_fma_f16 v36, v36, 0x3b00, -v104
	v_fma_f16 v37, v37, 0x3b00, -v106
	;; [unrolled: 1-line block ×3, first 2 shown]
	v_add_f16_e32 v102, v102, v109
	v_add_f16_e32 v104, v111, v110
	v_sub_f16_e32 v30, v26, v30
	v_sub_f16_e32 v33, v91, v33
	v_fma_f16 v35, v35, 0xb574, -v107
	v_mul_f16_e32 v106, 0x3a52, v112
	v_mul_f16_e32 v107, 0x3a52, v113
	;; [unrolled: 1-line block ×8, first 2 shown]
	v_fmamk_f16 v96, v96, 0xbcab, v27
	v_fmamk_f16 v97, v97, 0xbcab, v98
	v_fmac_f16_e32 v105, 0x370e, v90
	v_fmac_f16_e32 v37, 0x370e, v90
	;; [unrolled: 1-line block ×3, first 2 shown]
	v_add_f16_e32 v25, v25, v102
	v_add_f16_e32 v90, v89, v104
	;; [unrolled: 1-line block ×4, first 2 shown]
	v_fmac_f16_e32 v103, 0x370e, v28
	v_fmac_f16_e32 v36, 0x370e, v28
	v_fmac_f16_e32 v35, 0x370e, v28
	v_fmamk_f16 v28, v100, 0x2b26, v106
	v_fmamk_f16 v89, v114, 0x2b26, v107
	v_fma_f16 v100, v115, 0x39e0, -v108
	v_fma_f16 v108, v116, 0x39e0, -v109
	;; [unrolled: 1-line block ×4, first 2 shown]
	v_fmamk_f16 v109, v30, 0x3574, v110
	v_fmamk_f16 v114, v33, 0x3574, v111
	v_fma_f16 v110, v29, 0x3b00, -v110
	v_fma_f16 v29, v34, 0x3b00, -v111
	;; [unrolled: 1-line block ×4, first 2 shown]
	v_pack_b32_f16 v98, v27, v98
	v_add_f16_e32 v27, v94, v96
	v_add_f16_e32 v33, v95, v97
	;; [unrolled: 1-line block ×5, first 2 shown]
	v_fmamk_f16 v95, v102, 0xbcab, v25
	v_fmamk_f16 v96, v104, 0xbcab, v90
	v_add_f16_e32 v93, v93, v97
	v_fmac_f16_e32 v109, 0x370e, v26
	v_fmac_f16_e32 v114, 0x370e, v91
	;; [unrolled: 1-line block ×6, first 2 shown]
	v_add_f16_e32 v91, v105, v27
	v_sub_f16_e32 v97, v33, v103
	v_add_f16_e32 v99, v38, v92
	v_sub_f16_e32 v102, v34, v37
	v_add_f16_e32 v104, v36, v94
	v_add_f16_e32 v112, v37, v34
	v_sub_f16_e32 v94, v94, v36
	v_sub_f16_e32 v92, v92, v38
	v_add_f16_e32 v38, v28, v95
	v_add_f16_e32 v89, v89, v96
	;; [unrolled: 1-line block ×6, first 2 shown]
	v_sub_f16_e32 v101, v93, v35
	v_add_f16_e32 v93, v35, v93
	v_sub_f16_e32 v105, v27, v105
	v_add_f16_e32 v103, v103, v33
	v_add_f16_e32 v26, v114, v38
	v_sub_f16_e32 v35, v89, v109
	v_add_f16_e32 v27, v30, v37
	v_sub_f16_e32 v34, v95, v111
	v_sub_f16_e32 v28, v36, v29
	v_add_f16_e32 v33, v110, v96
	v_add_f16_e32 v29, v29, v36
	v_sub_f16_e32 v36, v96, v110
	v_sub_f16_e32 v30, v37, v30
	v_add_f16_e32 v37, v111, v95
	v_sub_f16_e32 v38, v38, v114
	v_pack_b32_f16 v91, v91, v97
	v_add_f16_e32 v89, v109, v89
	v_pack_b32_f16 v95, v99, v101
	v_pack_b32_f16 v96, v102, v104
	;; [unrolled: 1-line block ×5, first 2 shown]
	ds_store_2addr_stride64_b32 v50, v98, v91 offset1:4
	ds_store_2addr_stride64_b32 v50, v95, v96 offset0:8 offset1:12
	ds_store_2addr_stride64_b32 v50, v94, v92 offset0:16 offset1:20
	ds_store_b32 v50, v93 offset:6144
	s_and_saveexec_b32 s2, vcc_lo
	s_cbranch_execz .LBB0_5
; %bb.4:
	v_perm_b32 v25, v90, v25, 0x5040100
	v_perm_b32 v90, v35, v26, 0x5040100
	v_add_nc_u32_e32 v91, 0x80, v50
	v_perm_b32 v92, v34, v27, 0x5040100
	v_perm_b32 v93, v33, v28, 0x5040100
	;; [unrolled: 1-line block ×5, first 2 shown]
	ds_store_2addr_stride64_b32 v91, v25, v90 offset0:3 offset1:7
	ds_store_2addr_stride64_b32 v91, v92, v93 offset0:11 offset1:15
	;; [unrolled: 1-line block ×3, first 2 shown]
	ds_store_b32 v50, v96 offset:7040
.LBB0_5:
	s_wait_alu 0xfffe
	s_or_b32 exec_lo, exec_lo, s2
	global_wb scope:SCOPE_SE
	s_wait_dscnt 0x0
	s_barrier_signal -1
	s_barrier_wait -1
	global_inv scope:SCOPE_SE
	global_load_b32 v25, v[31:32], off offset:7168
	v_lshlrev_b32_e32 v31, 2, v48
	s_add_nc_u64 s[2:3], s[8:9], 0x1c00
	s_clause 0x6
	global_load_b32 v96, v31, s[2:3] offset:6272
	global_load_b32 v97, v31, s[2:3] offset:4480
	;; [unrolled: 1-line block ×7, first 2 shown]
	ds_load_2addr_b32 v[31:32], v50 offset1:224
	v_add_nc_u32_e32 v103, 0x700, v50
	v_add_nc_u32_e32 v104, 0xe00, v50
	v_add_nc_u32_e32 v105, 0x1500, v50
	v_add_nc_u32_e32 v106, 0x380, v50
	v_add_nc_u32_e32 v107, 0xa80, v50
	v_add_nc_u32_e32 v109, 0x1180, v50
	s_wait_dscnt 0x0
	v_lshrrev_b32_e32 v90, 16, v31
	s_wait_loadcnt 0x6
	v_lshrrev_b32_e32 v112, 16, v96
	v_lshrrev_b32_e32 v91, 16, v25
	s_wait_loadcnt 0x2
	v_lshrrev_b32_e32 v110, 16, v100
	s_wait_loadcnt 0x1
	v_lshrrev_b32_e32 v111, 16, v101
	v_mul_f16_e32 v92, v90, v91
	v_mul_f16_e32 v91, v31, v91
	s_delay_alu instid0(VALU_DEP_2) | instskip(NEXT) | instid1(VALU_DEP_2)
	v_fma_f16 v31, v31, v25, -v92
	v_fmac_f16_e32 v91, v90, v25
	s_delay_alu instid0(VALU_DEP_1)
	v_pack_b32_f16 v25, v31, v91
	v_lshrrev_b32_e32 v31, 16, v99
	ds_store_b32 v50, v25
	ds_load_2addr_b32 v[90:91], v103 offset1:224
	ds_load_2addr_b32 v[92:93], v104 offset1:224
	;; [unrolled: 1-line block ×3, first 2 shown]
	v_lshrrev_b32_e32 v25, 16, v32
	s_delay_alu instid0(VALU_DEP_1) | instskip(SKIP_1) | instid1(VALU_DEP_2)
	v_mul_f16_e32 v108, v25, v31
	v_mul_f16_e32 v31, v32, v31
	v_fma_f16 v32, v32, v99, -v108
	s_delay_alu instid0(VALU_DEP_2)
	v_fmac_f16_e32 v31, v25, v99
	v_lshrrev_b32_e32 v99, 16, v98
	s_wait_loadcnt 0x0
	v_lshrrev_b32_e32 v25, 16, v102
	v_lshrrev_b32_e32 v108, 16, v97
	v_pack_b32_f16 v31, v32, v31
	s_wait_dscnt 0x2
	v_lshrrev_b32_e32 v32, 16, v90
	v_mul_f16_e32 v113, v90, v110
	s_wait_dscnt 0x1
	v_lshrrev_b32_e32 v114, 16, v92
	v_lshrrev_b32_e32 v118, 16, v91
	s_wait_dscnt 0x0
	v_lshrrev_b32_e32 v116, 16, v94
	v_lshrrev_b32_e32 v120, 16, v93
	;; [unrolled: 1-line block ×3, first 2 shown]
	v_mul_f16_e32 v110, v32, v110
	v_mul_f16_e32 v115, v92, v111
	;; [unrolled: 1-line block ×3, first 2 shown]
	v_fmac_f16_e32 v113, v32, v100
	v_mul_f16_e32 v32, v114, v111
	v_mul_f16_e32 v99, v118, v99
	;; [unrolled: 1-line block ×8, first 2 shown]
	v_fma_f16 v90, v90, v100, -v110
	v_fmac_f16_e32 v115, v114, v101
	v_fmac_f16_e32 v119, v118, v98
	v_fma_f16 v32, v92, v101, -v32
	v_fma_f16 v91, v91, v98, -v99
	v_fmac_f16_e32 v117, v116, v102
	v_fmac_f16_e32 v121, v120, v97
	v_fma_f16 v25, v94, v102, -v25
	v_fma_f16 v92, v93, v97, -v108
	v_fmac_f16_e32 v123, v122, v96
	v_fma_f16 v93, v95, v96, -v111
	v_pack_b32_f16 v90, v90, v113
	v_pack_b32_f16 v32, v32, v115
	;; [unrolled: 1-line block ×6, first 2 shown]
	ds_store_2addr_b32 v106, v31, v90 offset1:224
	ds_store_2addr_b32 v107, v91, v32 offset1:224
	;; [unrolled: 1-line block ×3, first 2 shown]
	ds_store_b32 v50, v93 offset:6272
	global_wb scope:SCOPE_SE
	s_wait_dscnt 0x0
	s_barrier_signal -1
	s_barrier_wait -1
	global_inv scope:SCOPE_SE
	ds_load_2addr_b32 v[31:32], v50 offset1:224
	ds_load_2addr_b32 v[90:91], v103 offset1:224
	;; [unrolled: 1-line block ×4, first 2 shown]
	global_wb scope:SCOPE_SE
	s_wait_dscnt 0x0
	s_barrier_signal -1
	s_barrier_wait -1
	global_inv scope:SCOPE_SE
	v_pk_add_f16 v25, v31, v92 neg_lo:[0,1] neg_hi:[0,1]
	v_pk_add_f16 v94, v90, v94 neg_lo:[0,1] neg_hi:[0,1]
	;; [unrolled: 1-line block ×4, first 2 shown]
	s_delay_alu instid0(VALU_DEP_4) | instskip(NEXT) | instid1(VALU_DEP_4)
	v_pk_fma_f16 v31, v31, 2.0, v25 op_sel_hi:[1,0,1] neg_lo:[0,0,1] neg_hi:[0,0,1]
	v_pk_fma_f16 v90, v90, 2.0, v94 op_sel_hi:[1,0,1] neg_lo:[0,0,1] neg_hi:[0,0,1]
	v_lshrrev_b32_e32 v96, 16, v94
	v_lshrrev_b32_e32 v97, 16, v25
	v_pk_fma_f16 v32, v32, 2.0, v93 op_sel_hi:[1,0,1] neg_lo:[0,0,1] neg_hi:[0,0,1]
	v_pk_fma_f16 v91, v91, 2.0, v95 op_sel_hi:[1,0,1] neg_lo:[0,0,1] neg_hi:[0,0,1]
	v_lshrrev_b32_e32 v98, 16, v95
	v_lshrrev_b32_e32 v99, 16, v93
	v_pk_add_f16 v92, v31, v90 neg_lo:[0,1] neg_hi:[0,1]
	v_add_f16_e32 v100, v25, v96
	v_sub_f16_e32 v101, v97, v94
	v_pk_add_f16 v96, v32, v91 neg_lo:[0,1] neg_hi:[0,1]
	v_add_f16_e32 v91, v93, v98
	v_sub_f16_e32 v95, v99, v95
	v_pk_fma_f16 v90, v31, 2.0, v92 op_sel_hi:[1,0,1] neg_lo:[0,0,1] neg_hi:[0,0,1]
	v_fma_f16 v25, v25, 2.0, -v100
	v_fma_f16 v31, v97, 2.0, -v101
	;; [unrolled: 1-line block ×4, first 2 shown]
	v_pack_b32_f16 v93, v100, v101
	v_pack_b32_f16 v97, v91, v95
	;; [unrolled: 1-line block ×3, first 2 shown]
	v_pk_fma_f16 v94, v32, 2.0, v96 op_sel_hi:[1,0,1] neg_lo:[0,0,1] neg_hi:[0,0,1]
	v_pack_b32_f16 v95, v98, v99
	ds_store_b128 v60, v[90:93]
	ds_store_b128 v59, v[94:97]
	global_wb scope:SCOPE_SE
	s_wait_dscnt 0x0
	s_barrier_signal -1
	s_barrier_wait -1
	global_inv scope:SCOPE_SE
	ds_load_2addr_b32 v[31:32], v50 offset1:224
	ds_load_2addr_b32 v[59:60], v103 offset1:224
	ds_load_2addr_b32 v[90:91], v104 offset1:224
	ds_load_2addr_b32 v[92:93], v105 offset1:224
	global_wb scope:SCOPE_SE
	s_wait_dscnt 0x0
	s_barrier_signal -1
	s_barrier_wait -1
	global_inv scope:SCOPE_SE
	v_lshrrev_b32_e32 v25, 16, v31
	v_lshrrev_b32_e32 v94, 16, v59
	;; [unrolled: 1-line block ×4, first 2 shown]
	v_mul_f16_e32 v101, v71, v59
	v_mul_f16_e32 v102, v72, v90
	v_lshrrev_b32_e32 v98, 16, v60
	v_lshrrev_b32_e32 v99, 16, v91
	;; [unrolled: 1-line block ×3, first 2 shown]
	v_mul_f16_e32 v106, v73, v92
	v_mul_f16_e32 v110, v71, v94
	v_fma_f16 v94, v8, v94, -v101
	v_mul_f16_e32 v101, v72, v95
	v_fma_f16 v95, v9, v95, -v102
	v_mul_f16_e32 v102, v73, v96
	v_mul_f16_e32 v107, v71, v60
	;; [unrolled: 1-line block ×7, first 2 shown]
	v_fma_f16 v96, v10, v96, -v106
	v_fmac_f16_e32 v110, v8, v59
	v_fmac_f16_e32 v101, v9, v90
	v_fmac_f16_e32 v102, v10, v92
	v_lshrrev_b32_e32 v97, 16, v32
	v_fma_f16 v98, v8, v98, -v107
	v_fma_f16 v99, v9, v99, -v108
	;; [unrolled: 1-line block ×3, first 2 shown]
	v_fmac_f16_e32 v71, v8, v60
	v_fmac_f16_e32 v72, v9, v91
	v_fmac_f16_e32 v73, v10, v93
	v_sub_f16_e32 v8, v25, v95
	v_sub_f16_e32 v9, v94, v96
	;; [unrolled: 1-line block ×8, first 2 shown]
	v_fma_f16 v25, v25, 2.0, -v8
	v_fma_f16 v91, v94, 2.0, -v9
	v_fma_f16 v31, v31, 2.0, -v60
	v_fma_f16 v94, v110, 2.0, -v90
	v_fma_f16 v92, v97, 2.0, -v10
	v_fma_f16 v93, v98, 2.0, -v59
	v_fma_f16 v32, v32, 2.0, -v72
	v_fma_f16 v71, v71, 2.0, -v73
	v_add_f16_e32 v9, v60, v9
	v_sub_f16_e32 v90, v8, v90
	v_sub_f16_e32 v91, v25, v91
	;; [unrolled: 1-line block ×4, first 2 shown]
	v_add_f16_e32 v59, v72, v59
	v_sub_f16_e32 v73, v10, v73
	v_sub_f16_e32 v71, v32, v71
	v_fma_f16 v60, v60, 2.0, -v9
	v_fma_f16 v8, v8, 2.0, -v90
	v_fma_f16 v25, v25, 2.0, -v91
	v_fma_f16 v31, v31, 2.0, -v94
	v_fma_f16 v92, v92, 2.0, -v93
	v_fma_f16 v72, v72, 2.0, -v59
	v_fma_f16 v10, v10, 2.0, -v73
	v_fma_f16 v32, v32, 2.0, -v71
	v_pack_b32_f16 v9, v9, v90
	v_pack_b32_f16 v8, v60, v8
	;; [unrolled: 1-line block ×8, first 2 shown]
	ds_store_2addr_b32 v58, v60, v9 offset0:8 offset1:12
	ds_store_2addr_b32 v58, v25, v8 offset1:4
	ds_store_2addr_b32 v57, v31, v10 offset1:4
	ds_store_2addr_b32 v57, v32, v59 offset0:8 offset1:12
	global_wb scope:SCOPE_SE
	s_wait_dscnt 0x0
	s_barrier_signal -1
	s_barrier_wait -1
	global_inv scope:SCOPE_SE
	ds_load_2addr_b32 v[8:9], v50 offset1:224
	ds_load_2addr_b32 v[31:32], v103 offset1:224
	;; [unrolled: 1-line block ×4, first 2 shown]
	global_wb scope:SCOPE_SE
	s_wait_dscnt 0x0
	s_barrier_signal -1
	s_barrier_wait -1
	global_inv scope:SCOPE_SE
	v_lshrrev_b32_e32 v10, 16, v8
	v_lshrrev_b32_e32 v25, 16, v31
	;; [unrolled: 1-line block ×4, first 2 shown]
	v_mul_f16_e32 v93, v80, v31
	v_mul_f16_e32 v94, v81, v57
	v_lshrrev_b32_e32 v90, 16, v32
	v_lshrrev_b32_e32 v91, 16, v58
	;; [unrolled: 1-line block ×3, first 2 shown]
	v_mul_f16_e32 v95, v82, v59
	v_mul_f16_e32 v99, v80, v25
	v_fma_f16 v25, v11, v25, -v93
	v_mul_f16_e32 v93, v81, v71
	v_fma_f16 v71, v12, v71, -v94
	v_mul_f16_e32 v94, v82, v72
	v_mul_f16_e32 v96, v80, v32
	v_mul_f16_e32 v97, v81, v58
	v_mul_f16_e32 v98, v82, v60
	v_mul_f16_e32 v80, v80, v90
	v_mul_f16_e32 v81, v81, v91
	v_mul_f16_e32 v82, v82, v92
	v_fma_f16 v72, v13, v72, -v95
	v_fmac_f16_e32 v99, v11, v31
	v_fmac_f16_e32 v93, v12, v57
	;; [unrolled: 1-line block ×3, first 2 shown]
	v_lshrrev_b32_e32 v73, 16, v9
	v_fma_f16 v90, v11, v90, -v96
	v_fma_f16 v91, v12, v91, -v97
	;; [unrolled: 1-line block ×3, first 2 shown]
	v_fmac_f16_e32 v80, v11, v32
	v_fmac_f16_e32 v81, v12, v58
	;; [unrolled: 1-line block ×3, first 2 shown]
	v_sub_f16_e32 v11, v10, v71
	v_sub_f16_e32 v12, v25, v72
	;; [unrolled: 1-line block ×8, first 2 shown]
	v_fma_f16 v10, v10, 2.0, -v11
	v_fma_f16 v25, v25, 2.0, -v12
	;; [unrolled: 1-line block ×8, first 2 shown]
	v_sub_f16_e32 v25, v10, v25
	v_add_f16_e32 v12, v32, v12
	v_sub_f16_e32 v57, v11, v57
	v_sub_f16_e32 v72, v8, v72
	;; [unrolled: 1-line block ×3, first 2 shown]
	v_add_f16_e32 v31, v58, v31
	v_sub_f16_e32 v60, v13, v60
	v_sub_f16_e32 v73, v9, v73
	v_fma_f16 v10, v10, 2.0, -v25
	v_fma_f16 v32, v32, 2.0, -v12
	;; [unrolled: 1-line block ×8, first 2 shown]
	v_pack_b32_f16 v12, v12, v57
	v_pack_b32_f16 v25, v72, v25
	v_pack_b32_f16 v11, v32, v11
	v_pack_b32_f16 v8, v8, v10
	v_pack_b32_f16 v13, v58, v13
	v_pack_b32_f16 v9, v9, v59
	v_pack_b32_f16 v31, v31, v60
	v_pack_b32_f16 v10, v73, v71
	ds_store_2addr_b32 v69, v25, v12 offset0:32 offset1:48
	ds_store_2addr_b32 v69, v8, v11 offset1:16
	ds_store_2addr_b32 v70, v9, v13 offset1:16
	ds_store_2addr_b32 v70, v10, v31 offset0:32 offset1:48
	global_wb scope:SCOPE_SE
	s_wait_dscnt 0x0
	s_barrier_signal -1
	s_barrier_wait -1
	global_inv scope:SCOPE_SE
	ds_load_2addr_b32 v[8:9], v50 offset1:224
	ds_load_2addr_b32 v[10:11], v103 offset1:224
	;; [unrolled: 1-line block ×4, first 2 shown]
	global_wb scope:SCOPE_SE
	s_wait_dscnt 0x0
	s_barrier_signal -1
	s_barrier_wait -1
	global_inv scope:SCOPE_SE
	v_lshrrev_b32_e32 v25, 16, v8
	v_lshrrev_b32_e32 v57, 16, v10
	;; [unrolled: 1-line block ×4, first 2 shown]
	v_mul_f16_e32 v72, v79, v10
	v_mul_f16_e32 v73, v78, v12
	v_lshrrev_b32_e32 v69, 16, v11
	v_lshrrev_b32_e32 v70, 16, v13
	;; [unrolled: 1-line block ×3, first 2 shown]
	v_mul_f16_e32 v80, v77, v31
	v_mul_f16_e32 v81, v76, v11
	;; [unrolled: 1-line block ×5, first 2 shown]
	v_fma_f16 v57, v17, v57, -v72
	v_mul_f16_e32 v72, v78, v58
	v_fma_f16 v58, v18, v58, -v73
	v_mul_f16_e32 v73, v77, v59
	v_mul_f16_e32 v76, v76, v69
	;; [unrolled: 1-line block ×4, first 2 shown]
	v_lshrrev_b32_e32 v60, 16, v9
	v_fma_f16 v59, v19, v59, -v80
	v_fma_f16 v69, v14, v69, -v81
	;; [unrolled: 1-line block ×4, first 2 shown]
	v_fmac_f16_e32 v79, v17, v10
	v_fmac_f16_e32 v72, v18, v12
	;; [unrolled: 1-line block ×6, first 2 shown]
	v_sub_f16_e32 v10, v25, v58
	v_sub_f16_e32 v11, v57, v59
	;; [unrolled: 1-line block ×8, first 2 shown]
	v_fma_f16 v16, v25, 2.0, -v10
	v_fma_f16 v17, v57, 2.0, -v11
	;; [unrolled: 1-line block ×8, first 2 shown]
	v_sub_f16_e32 v17, v16, v17
	v_add_f16_e32 v11, v15, v11
	v_sub_f16_e32 v57, v10, v14
	v_sub_f16_e32 v59, v19, v25
	v_add_f16_e32 v25, v18, v13
	v_sub_f16_e32 v13, v8, v32
	v_sub_f16_e32 v14, v12, v31
	;; [unrolled: 1-line block ×3, first 2 shown]
	v_fma_f16 v16, v16, 2.0, -v17
	v_fma_f16 v15, v15, 2.0, -v11
	;; [unrolled: 1-line block ×8, first 2 shown]
	v_pack_b32_f16 v10, v15, v10
	v_pack_b32_f16 v8, v8, v16
	;; [unrolled: 1-line block ×8, first 2 shown]
	ds_store_2addr_stride64_b32 v67, v8, v10 offset1:1
	ds_store_2addr_stride64_b32 v67, v13, v11 offset0:2 offset1:3
	ds_store_2addr_stride64_b32 v66, v9, v12 offset1:1
	ds_store_2addr_stride64_b32 v66, v15, v32 offset0:2 offset1:3
	global_wb scope:SCOPE_SE
	s_wait_dscnt 0x0
	s_barrier_signal -1
	s_barrier_wait -1
	global_inv scope:SCOPE_SE
	ds_load_2addr_stride64_b32 v[8:9], v50 offset1:4
	ds_load_2addr_stride64_b32 v[12:13], v50 offset0:8 offset1:12
	ds_load_2addr_stride64_b32 v[10:11], v50 offset0:16 offset1:20
	ds_load_b32 v15, v50 offset:6144
	s_and_saveexec_b32 s2, vcc_lo
	s_cbranch_execz .LBB0_7
; %bb.6:
	v_add_nc_u32_e32 v14, 0x80, v50
	ds_load_2addr_stride64_b32 v[25:26], v14 offset0:3 offset1:7
	ds_load_2addr_stride64_b32 v[27:28], v14 offset0:11 offset1:15
	ds_load_2addr_stride64_b32 v[29:30], v14 offset0:19 offset1:23
	ds_load_b32 v38, v50 offset:7040
	s_wait_dscnt 0x3
	v_lshrrev_b32_e32 v14, 16, v25
	v_lshrrev_b32_e32 v35, 16, v26
	s_wait_dscnt 0x2
	v_lshrrev_b32_e32 v34, 16, v27
	v_lshrrev_b32_e32 v33, 16, v28
	;; [unrolled: 3-line block ×3, first 2 shown]
	s_wait_dscnt 0x0
	v_lshrrev_b32_e32 v89, 16, v38
.LBB0_7:
	s_wait_alu 0xfffe
	s_or_b32 exec_lo, exec_lo, s2
	s_wait_dscnt 0x3
	v_lshrrev_b32_e32 v16, 16, v9
	s_wait_dscnt 0x2
	v_lshrrev_b32_e32 v18, 16, v12
	v_lshrrev_b32_e32 v19, 16, v13
	v_mul_f16_e32 v31, v88, v9
	s_wait_dscnt 0x1
	v_lshrrev_b32_e32 v57, 16, v10
	v_mul_f16_e32 v32, v88, v16
	v_lshrrev_b32_e32 v58, 16, v11
	s_wait_dscnt 0x0
	v_lshrrev_b32_e32 v59, 16, v15
	v_fma_f16 v16, v4, v16, -v31
	v_mul_f16_e32 v31, v86, v19
	v_fmac_f16_e32 v32, v4, v9
	v_mul_f16_e32 v4, v87, v18
	v_mul_f16_e32 v9, v87, v12
	;; [unrolled: 1-line block ×4, first 2 shown]
	v_fmac_f16_e32 v31, v6, v13
	v_fmac_f16_e32 v4, v5, v12
	v_fma_f16 v5, v5, v18, -v9
	v_fmac_f16_e32 v66, v7, v10
	v_mul_f16_e32 v9, v85, v59
	v_mul_f16_e32 v12, v85, v15
	;; [unrolled: 1-line block ×5, first 2 shown]
	v_fmac_f16_e32 v9, v24, v15
	v_fma_f16 v12, v24, v59, -v12
	v_fma_f16 v7, v7, v57, -v10
	v_fmac_f16_e32 v13, v23, v11
	v_fma_f16 v10, v23, v58, -v18
	v_fma_f16 v6, v6, v19, -v60
	v_add_f16_e32 v11, v32, v9
	v_add_f16_e32 v15, v16, v12
	v_sub_f16_e32 v12, v16, v12
	v_add_f16_e32 v16, v4, v13
	v_add_f16_e32 v18, v5, v10
	v_sub_f16_e32 v4, v4, v13
	v_sub_f16_e32 v5, v5, v10
	v_add_f16_e32 v10, v31, v66
	v_add_f16_e32 v13, v6, v7
	v_sub_f16_e32 v19, v66, v31
	;; [unrolled: 4-line block ×3, first 2 shown]
	v_lshrrev_b32_e32 v17, 16, v8
	v_sub_f16_e32 v24, v16, v11
	v_sub_f16_e32 v31, v18, v15
	;; [unrolled: 1-line block ×6, first 2 shown]
	v_add_f16_e32 v32, v19, v4
	v_add_f16_e32 v57, v6, v5
	v_sub_f16_e32 v58, v19, v4
	v_sub_f16_e32 v59, v6, v5
	v_add_f16_e32 v7, v10, v7
	v_add_f16_e32 v10, v13, v23
	v_sub_f16_e32 v4, v4, v9
	v_sub_f16_e32 v5, v5, v12
	;; [unrolled: 1-line block ×4, first 2 shown]
	v_add_f16_e32 v9, v32, v9
	v_add_f16_e32 v12, v57, v12
	;; [unrolled: 1-line block ×4, first 2 shown]
	v_mul_f16_e32 v11, 0x3a52, v11
	v_mul_f16_e32 v15, 0x3a52, v15
	;; [unrolled: 1-line block ×8, first 2 shown]
	v_fmamk_f16 v7, v7, 0xbcab, v8
	v_fmamk_f16 v10, v10, 0xbcab, v13
	;; [unrolled: 1-line block ×4, first 2 shown]
	v_fma_f16 v17, v24, 0x39e0, -v17
	v_fma_f16 v23, v31, 0x39e0, -v23
	;; [unrolled: 1-line block ×4, first 2 shown]
	v_fmamk_f16 v24, v19, 0xb574, v32
	v_fmamk_f16 v31, v6, 0xb574, v57
	v_fma_f16 v4, v4, 0xbb00, -v32
	v_fma_f16 v5, v5, 0xbb00, -v57
	;; [unrolled: 1-line block ×4, first 2 shown]
	v_add_f16_e32 v16, v16, v7
	v_add_f16_e32 v18, v18, v10
	v_fmac_f16_e32 v24, 0xb70e, v9
	v_fmac_f16_e32 v31, 0xb70e, v12
	v_add_f16_e32 v17, v17, v7
	v_add_f16_e32 v23, v23, v10
	v_add_f16_e32 v7, v11, v7
	v_add_f16_e32 v10, v15, v10
	v_fmac_f16_e32 v4, 0xb70e, v9
	v_fmac_f16_e32 v6, 0xb70e, v12
	;; [unrolled: 1-line block ×4, first 2 shown]
	v_add_f16_e32 v9, v31, v16
	v_sub_f16_e32 v11, v18, v24
	v_add_f16_e32 v12, v6, v7
	v_sub_f16_e32 v15, v10, v19
	v_sub_f16_e32 v32, v17, v5
	v_add_f16_e32 v57, v4, v23
	v_add_f16_e32 v5, v5, v17
	v_sub_f16_e32 v4, v23, v4
	v_sub_f16_e32 v6, v7, v6
	v_add_f16_e32 v7, v19, v10
	v_sub_f16_e32 v10, v16, v31
	v_add_f16_e32 v16, v24, v18
	v_pack_b32_f16 v8, v8, v13
	v_pack_b32_f16 v9, v9, v11
	v_pack_b32_f16 v11, v12, v15
	v_pack_b32_f16 v12, v32, v57
	v_pack_b32_f16 v4, v5, v4
	v_pack_b32_f16 v5, v6, v7
	v_pack_b32_f16 v6, v10, v16
	ds_store_2addr_stride64_b32 v50, v8, v9 offset1:4
	ds_store_2addr_stride64_b32 v50, v11, v12 offset0:8 offset1:12
	ds_store_2addr_stride64_b32 v50, v4, v5 offset0:16 offset1:20
	ds_store_b32 v50, v6 offset:6144
	s_and_saveexec_b32 s2, vcc_lo
	s_cbranch_execz .LBB0_9
; %bb.8:
	v_mul_f16_e32 v4, v65, v35
	v_mul_f16_e32 v7, v63, v34
	;; [unrolled: 1-line block ×9, first 2 shown]
	v_fmac_f16_e32 v7, v1, v27
	v_fmac_f16_e32 v4, v0, v26
	;; [unrolled: 1-line block ×3, first 2 shown]
	v_fma_f16 v12, v22, v89, -v12
	v_fma_f16 v0, v0, v35, -v16
	v_mul_f16_e32 v16, v61, v28
	v_mul_f16_e32 v22, v62, v29
	v_fma_f16 v18, v21, v37, -v18
	v_fma_f16 v1, v1, v34, -v19
	v_mul_f16_e32 v8, v64, v37
	v_fmac_f16_e32 v5, v3, v29
	v_fmac_f16_e32 v6, v2, v28
	v_add_f16_e32 v19, v12, v0
	v_fma_f16 v2, v2, v33, -v16
	v_fma_f16 v3, v3, v36, -v22
	v_add_f16_e32 v16, v18, v1
	v_fmac_f16_e32 v8, v21, v30
	v_sub_f16_e32 v13, v4, v9
	v_add_f16_e32 v4, v9, v4
	v_add_f16_e32 v22, v2, v3
	;; [unrolled: 1-line block ×3, first 2 shown]
	v_sub_f16_e32 v11, v7, v8
	v_add_f16_e32 v7, v8, v7
	v_sub_f16_e32 v10, v5, v6
	v_sub_f16_e32 v24, v19, v22
	v_add_f16_e32 v23, v22, v23
	v_add_f16_e32 v5, v6, v5
	v_sub_f16_e32 v2, v3, v2
	v_sub_f16_e32 v1, v1, v18
	v_mul_f16_e32 v9, 0x3a52, v24
	v_add_f16_e32 v6, v14, v23
	v_add_f16_e32 v14, v7, v4
	v_sub_f16_e32 v24, v4, v5
	v_sub_f16_e32 v0, v0, v12
	;; [unrolled: 1-line block ×4, first 2 shown]
	v_add_f16_e32 v14, v5, v14
	v_mul_f16_e32 v3, 0x3a52, v24
	v_sub_f16_e32 v5, v5, v7
	v_sub_f16_e32 v12, v2, v1
	;; [unrolled: 1-line block ×3, first 2 shown]
	v_add_f16_e32 v18, v25, v14
	v_add_f16_e32 v10, v10, v11
	v_sub_f16_e32 v25, v0, v2
	v_sub_f16_e32 v11, v11, v13
	v_add_f16_e32 v2, v2, v1
	v_sub_f16_e32 v16, v16, v19
	v_sub_f16_e32 v1, v1, v0
	v_mul_f16_e32 v15, 0x3846, v15
	v_mul_f16_e32 v22, 0x2b26, v8
	v_fmamk_f16 v24, v5, 0x2b26, v3
	v_fmamk_f16 v14, v14, 0xbcab, v18
	v_mul_f16_e32 v12, 0x3846, v12
	v_fmamk_f16 v8, v8, 0x2b26, v9
	v_mul_f16_e32 v5, 0x2b26, v5
	v_mul_f16_e32 v27, 0xbb00, v11
	v_sub_f16_e32 v4, v7, v4
	v_fma_f16 v7, v16, 0xb9e0, -v9
	v_mul_f16_e32 v9, 0xbb00, v1
	v_fmamk_f16 v21, v17, 0xb574, v15
	v_add_f16_e32 v10, v10, v13
	v_fmamk_f16 v23, v23, 0xbcab, v6
	v_add_f16_e32 v13, v24, v14
	;; [unrolled: 2-line block ×3, first 2 shown]
	v_fma_f16 v16, v16, 0x39e0, -v22
	v_fma_f16 v11, v11, 0xbb00, -v15
	;; [unrolled: 1-line block ×7, first 2 shown]
	v_fmac_f16_e32 v21, 0xb70e, v10
	v_add_f16_e32 v8, v8, v23
	v_fmac_f16_e32 v24, 0xb70e, v0
	v_add_f16_e32 v5, v16, v23
	v_fmac_f16_e32 v11, 0xb70e, v10
	v_fmac_f16_e32 v2, 0xb70e, v10
	v_add_f16_e32 v7, v7, v23
	v_add_f16_e32 v3, v3, v14
	v_fmac_f16_e32 v9, 0xb70e, v0
	v_fmac_f16_e32 v1, 0xb70e, v0
	v_add_f16_e32 v0, v4, v14
	v_add_f16_e32 v26, v21, v8
	v_sub_f16_e32 v14, v5, v11
	v_add_f16_e32 v5, v11, v5
	v_sub_f16_e32 v8, v8, v21
	v_add_f16_e32 v11, v24, v13
	v_add_f16_e32 v10, v2, v7
	v_sub_f16_e32 v12, v3, v9
	v_add_f16_e32 v15, v1, v0
	v_sub_f16_e32 v2, v7, v2
	;; [unrolled: 2-line block ×3, first 2 shown]
	v_sub_f16_e32 v4, v13, v24
	v_pack_b32_f16 v1, v18, v6
	v_pack_b32_f16 v6, v11, v8
	v_add_nc_u32_e32 v7, 0x80, v50
	v_pack_b32_f16 v2, v3, v2
	v_pack_b32_f16 v0, v0, v5
	;; [unrolled: 1-line block ×5, first 2 shown]
	ds_store_2addr_stride64_b32 v7, v1, v6 offset0:3 offset1:7
	ds_store_2addr_stride64_b32 v7, v2, v0 offset0:11 offset1:15
	;; [unrolled: 1-line block ×3, first 2 shown]
	ds_store_b32 v50, v4 offset:7040
.LBB0_9:
	s_wait_alu 0xfffe
	s_or_b32 exec_lo, exec_lo, s2
	global_wb scope:SCOPE_SE
	s_wait_dscnt 0x0
	s_barrier_signal -1
	s_barrier_wait -1
	global_inv scope:SCOPE_SE
	ds_load_2addr_b32 v[5:6], v50 offset1:224
	v_mad_co_u64_u32 v[21:22], null, s6, v20, 0
	v_add_nc_u32_e32 v0, 0x700, v50
	v_mad_co_u64_u32 v[23:24], null, s4, v48, 0
	s_mov_b32 s8, 0x92492492
	s_mov_b32 s9, 0x3f424924
	ds_load_2addr_b32 v[3:4], v0 offset1:224
	v_add_nc_u32_e32 v0, 0xe00, v50
	ds_load_2addr_b32 v[1:2], v0 offset1:224
	s_wait_dscnt 0x2
	v_lshrrev_b32_e32 v7, 16, v5
	v_mul_f16_e32 v8, v56, v5
	s_delay_alu instid0(VALU_DEP_2) | instskip(NEXT) | instid1(VALU_DEP_2)
	v_mul_f16_e32 v0, v56, v7
	v_fma_f16 v7, v51, v7, -v8
	s_wait_dscnt 0x1
	v_lshrrev_b32_e32 v11, 16, v3
	v_mul_f16_e32 v9, v55, v3
	v_fmac_f16_e32 v0, v51, v5
	v_cvt_f32_f16_e32 v5, v7
	s_wait_dscnt 0x0
	v_lshrrev_b32_e32 v15, 16, v1
	s_delay_alu instid0(VALU_DEP_3) | instskip(NEXT) | instid1(VALU_DEP_3)
	v_cvt_f32_f16_e32 v0, v0
	v_cvt_f64_f32_e32 v[7:8], v5
	v_fma_f16 v5, v53, v11, -v9
	s_delay_alu instid0(VALU_DEP_3) | instskip(SKIP_1) | instid1(VALU_DEP_3)
	v_cvt_f64_f32_e32 v[9:10], v0
	v_mul_f16_e32 v0, v55, v11
	v_cvt_f32_f16_e32 v5, v5
	s_delay_alu instid0(VALU_DEP_2) | instskip(NEXT) | instid1(VALU_DEP_2)
	v_fmac_f16_e32 v0, v53, v3
	v_cvt_f64_f32_e32 v[11:12], v5
	v_mul_f16_e32 v3, v54, v15
	s_delay_alu instid0(VALU_DEP_3) | instskip(NEXT) | instid1(VALU_DEP_2)
	v_cvt_f32_f16_e32 v0, v0
	v_fmac_f16_e32 v3, v52, v1
	v_mul_f16_e32 v1, v54, v1
	s_delay_alu instid0(VALU_DEP_3) | instskip(NEXT) | instid1(VALU_DEP_3)
	v_cvt_f64_f32_e32 v[13:14], v0
	v_cvt_f32_f16_e32 v0, v3
	s_delay_alu instid0(VALU_DEP_3) | instskip(SKIP_1) | instid1(VALU_DEP_3)
	v_fma_f16 v1, v52, v15, -v1
	v_add_nc_u32_e32 v3, 0x1500, v50
	v_cvt_f64_f32_e32 v[15:16], v0
	s_delay_alu instid0(VALU_DEP_3) | instskip(SKIP_4) | instid1(VALU_DEP_3)
	v_cvt_f32_f16_e32 v5, v1
	ds_load_2addr_b32 v[0:1], v3 offset1:224
	v_mov_b32_e32 v3, v22
	v_cvt_f64_f32_e32 v[17:18], v5
	v_mov_b32_e32 v5, v24
	v_mad_co_u64_u32 v[19:20], null, s7, v20, v[3:4]
	s_wait_alu 0xfffe
	v_mul_f64_e32 v[7:8], s[8:9], v[7:8]
	s_delay_alu instid0(VALU_DEP_3) | instskip(SKIP_1) | instid1(VALU_DEP_4)
	v_mad_co_u64_u32 v[24:25], null, s5, v48, v[5:6]
	v_mul_f64_e32 v[9:10], s[8:9], v[9:10]
	v_mov_b32_e32 v22, v19
	s_delay_alu instid0(VALU_DEP_1) | instskip(SKIP_4) | instid1(VALU_DEP_4)
	v_lshlrev_b64_e32 v[19:20], 2, v[21:22]
	v_mul_f64_e32 v[11:12], s[8:9], v[11:12]
	s_wait_dscnt 0x0
	v_lshrrev_b32_e32 v3, 16, v0
	v_lshlrev_b64_e32 v[21:22], 2, v[23:24]
	v_add_co_u32 v23, vcc_lo, s0, v19
	s_delay_alu instid0(VALU_DEP_3) | instskip(SKIP_3) | instid1(VALU_DEP_3)
	v_mul_f16_e32 v5, v49, v3
	s_wait_alu 0xfffd
	v_add_co_ci_u32_e32 v24, vcc_lo, s1, v20, vcc_lo
	v_mul_f64_e32 v[13:14], s[8:9], v[13:14]
	v_fmac_f16_e32 v5, v47, v0
	v_mul_f16_e32 v0, v49, v0
	v_mul_f64_e32 v[15:16], s[8:9], v[15:16]
	s_delay_alu instid0(VALU_DEP_3) | instskip(NEXT) | instid1(VALU_DEP_3)
	v_cvt_f32_f16_e32 v5, v5
	v_fma_f16 v0, v47, v3, -v0
	s_delay_alu instid0(VALU_DEP_2) | instskip(SKIP_1) | instid1(VALU_DEP_3)
	v_cvt_f64_f32_e32 v[19:20], v5
	v_mul_f64_e32 v[17:18], s[8:9], v[17:18]
	v_cvt_f32_f16_e32 v0, v0
	v_and_or_b32 v5, 0x1ff, v8, v7
	v_lshrrev_b32_e32 v7, 8, v8
	v_bfe_u32 v25, v8, 20, 11
	v_lshrrev_b32_e32 v8, 16, v8
	v_and_or_b32 v9, 0x1ff, v10, v9
	v_cmp_ne_u32_e32 vcc_lo, 0, v5
	v_lshrrev_b32_e32 v26, 8, v10
	v_bfe_u32 v27, v10, 20, 11
	v_sub_nc_u32_e32 v28, 0x3f1, v25
	v_lshrrev_b32_e32 v10, 16, v10
	s_wait_alu 0xfffd
	v_cndmask_b32_e64 v5, 0, 1, vcc_lo
	v_cmp_ne_u32_e32 vcc_lo, 0, v9
	v_and_or_b32 v11, 0x1ff, v12, v11
	v_sub_nc_u32_e32 v31, 0x3f1, v27
	v_add_nc_u32_e32 v27, 0xfffffc10, v27
	v_and_or_b32 v5, 0xffe, v7, v5
	s_wait_alu 0xfffd
	v_cndmask_b32_e64 v9, 0, 1, vcc_lo
	v_cmp_ne_u32_e32 vcc_lo, 0, v11
	v_med3_i32 v7, v28, 0, 13
	v_lshrrev_b32_e32 v29, 8, v12
	v_bfe_u32 v30, v12, 20, 11
	v_and_or_b32 v9, 0xffe, v26, v9
	v_and_or_b32 v13, 0x1ff, v14, v13
	s_wait_alu 0xfffd
	v_cndmask_b32_e64 v11, 0, 1, vcc_lo
	v_cmp_ne_u32_e32 vcc_lo, 0, v5
	v_med3_i32 v26, v31, 0, 13
	v_lshl_or_b32 v48, v27, 12, v9
	v_add_nc_u32_e32 v25, 0xfffffc10, v25
	v_and_or_b32 v15, 0x1ff, v16, v15
	v_or_b32_e32 v31, 0x1000, v5
	v_bfe_u32 v32, v14, 20, 11
	v_lshrrev_b32_e32 v34, 8, v16
	v_lshl_or_b32 v36, v25, 12, v5
	s_wait_alu 0xfffd
	v_cndmask_b32_e64 v5, 0, 1, vcc_lo
	v_cmp_ne_u32_e32 vcc_lo, 0, v13
	v_or_b32_e32 v38, 0x1000, v9
	v_lshrrev_b32_e32 v50, v7, v31
	v_lshrrev_b32_e32 v28, 8, v14
	v_sub_nc_u32_e32 v33, 0x3f1, v30
	s_wait_alu 0xfffd
	v_cndmask_b32_e64 v13, 0, 1, vcc_lo
	v_cmp_ne_u32_e32 vcc_lo, 0, v15
	v_sub_nc_u32_e32 v37, 0x3f1, v32
	v_and_or_b32 v11, 0xffe, v29, v11
	v_lshlrev_b32_e32 v7, v7, v50
	v_med3_i32 v29, v33, 0, 13
	s_wait_alu 0xfffd
	v_cndmask_b32_e64 v15, 0, 1, vcc_lo
	v_cmp_ne_u32_e32 vcc_lo, 0, v9
	v_and_or_b32 v13, 0xffe, v28, v13
	v_med3_i32 v28, v37, 0, 13
	v_or_b32_e32 v37, 0x1000, v11
	v_and_or_b32 v15, 0xffe, v34, v15
	v_lshrrev_b32_e32 v34, v26, v38
	s_wait_alu 0xfffd
	v_cndmask_b32_e64 v9, 0, 1, vcc_lo
	v_cmp_ne_u32_e32 vcc_lo, v7, v31
	v_lshrrev_b32_e32 v54, v29, v37
	v_add_nc_u32_e32 v32, 0xfffffc10, v32
	v_lshlrev_b32_e32 v26, v26, v34
	v_or_b32_e32 v52, 0x1000, v13
	s_wait_alu 0xfffd
	v_cndmask_b32_e64 v7, 0, 1, vcc_lo
	v_lshlrev_b32_e32 v29, v29, v54
	v_lshl_or_b32 v53, v32, 12, v13
	v_cmp_ne_u32_e32 vcc_lo, v26, v38
	v_lshrrev_b32_e32 v31, v28, v52
	v_or_b32_e32 v7, v50, v7
	v_lshl_or_b32 v9, v9, 9, 0x7c00
	v_lshl_or_b32 v5, v5, 9, 0x7c00
	s_wait_alu 0xfffd
	v_cndmask_b32_e64 v26, 0, 1, vcc_lo
	v_cmp_ne_u32_e32 vcc_lo, 0, v13
	v_lshlrev_b32_e32 v28, v28, v31
	v_bfe_u32 v35, v16, 20, 11
	v_lshrrev_b32_e32 v14, 16, v14
	v_or_b32_e32 v26, v34, v26
	s_wait_alu 0xfffd
	v_cndmask_b32_e64 v13, 0, 1, vcc_lo
	v_cmp_ne_u32_e32 vcc_lo, v29, v37
	v_sub_nc_u32_e32 v33, 0x3f1, v35
	v_add_nc_u32_e32 v3, 0xfffffc10, v35
	s_wait_alu 0xfffd
	v_cndmask_b32_e64 v29, 0, 1, vcc_lo
	v_cmp_gt_i32_e32 vcc_lo, 1, v25
	v_add_nc_u32_e32 v30, 0xfffffc10, v30
	s_delay_alu instid0(VALU_DEP_3) | instskip(SKIP_4) | instid1(VALU_DEP_3)
	v_or_b32_e32 v29, v54, v29
	s_wait_alu 0xfffd
	v_cndmask_b32_e32 v7, v36, v7, vcc_lo
	v_cmp_gt_i32_e32 vcc_lo, 1, v27
	v_lshl_or_b32 v51, v30, 12, v11
	v_and_b32_e32 v34, 7, v7
	s_wait_alu 0xfffd
	v_cndmask_b32_e32 v26, v48, v26, vcc_lo
	v_cmp_ne_u32_e32 vcc_lo, v28, v52
	v_lshrrev_b32_e32 v7, 2, v7
	v_cmp_lt_i32_e64 s1, 5, v34
	s_delay_alu instid0(VALU_DEP_4)
	v_and_b32_e32 v36, 7, v26
	s_wait_alu 0xfffd
	v_cndmask_b32_e64 v28, 0, 1, vcc_lo
	v_cmp_gt_i32_e32 vcc_lo, 1, v30
	v_lshrrev_b32_e32 v26, 2, v26
	v_cmp_eq_u32_e64 s2, 3, v34
	v_cmp_eq_u32_e64 s0, 3, v36
	v_or_b32_e32 v28, v31, v28
	s_wait_alu 0xfffd
	v_cndmask_b32_e32 v29, v51, v29, vcc_lo
	v_cmp_lt_i32_e32 vcc_lo, 5, v36
	v_cmp_gt_i32_e64 s3, 1, v32
	s_or_b32 vcc_lo, s0, vcc_lo
	s_delay_alu instid0(VALU_DEP_1)
	v_cndmask_b32_e64 v28, v53, v28, s3
	s_wait_alu 0xfffe
	v_add_co_ci_u32_e32 v26, vcc_lo, 0, v26, vcc_lo
	s_or_b32 vcc_lo, s2, s1
	v_cmp_eq_u32_e64 s0, 0x40f, v27
	s_wait_alu 0xfffe
	v_add_co_ci_u32_e32 v7, vcc_lo, 0, v7, vcc_lo
	v_cmp_gt_i32_e32 vcc_lo, 31, v27
	v_and_b32_e32 v31, 7, v28
	v_cmp_eq_u32_e64 s1, 0x40f, v25
	v_bfe_u32 v27, v18, 20, 11
	s_mul_u64 s[2:3], s[4:5], 0x700
	s_wait_alu 0xfffd
	v_cndmask_b32_e32 v26, 0x7c00, v26, vcc_lo
	v_cmp_gt_i32_e32 vcc_lo, 31, v25
	s_delay_alu instid0(VALU_DEP_2)
	v_cndmask_b32_e64 v9, v26, v9, s0
	s_wait_alu 0xfffd
	v_cndmask_b32_e32 v7, 0x7c00, v7, vcc_lo
	v_cmp_lt_i32_e32 vcc_lo, 5, v31
	v_cmp_eq_u32_e64 s0, 3, v31
	v_lshrrev_b32_e32 v26, 2, v28
	s_delay_alu instid0(VALU_DEP_4) | instskip(SKIP_1) | instid1(VALU_DEP_4)
	v_cndmask_b32_e64 v5, v7, v5, s1
	v_and_or_b32 v7, 0x8000, v10, v9
	s_or_b32 vcc_lo, s0, vcc_lo
	v_lshl_or_b32 v10, v13, 9, 0x7c00
	s_wait_alu 0xfffe
	v_add_co_ci_u32_e32 v9, vcc_lo, 0, v26, vcc_lo
	v_cmp_gt_i32_e32 vcc_lo, 31, v32
	v_and_or_b32 v5, 0x8000, v8, v5
	v_and_b32_e32 v7, 0xffff, v7
	v_and_b32_e32 v8, 7, v29
	v_cmp_eq_u32_e64 s1, 0x40f, v32
	s_wait_alu 0xfffd
	v_cndmask_b32_e32 v9, 0x7c00, v9, vcc_lo
	v_med3_i32 v13, v33, 0, 13
	v_lshl_or_b32 v5, v5, 16, v7
	v_or_b32_e32 v7, 0x1000, v15
	v_cmp_lt_i32_e32 vcc_lo, 5, v8
	v_cmp_eq_u32_e64 s0, 3, v8
	s_wait_alu 0xf1ff
	v_cndmask_b32_e64 v8, v9, v10, s1
	v_lshrrev_b32_e32 v9, 2, v29
	v_lshrrev_b32_e32 v10, v13, v7
	v_cmp_eq_u32_e64 s1, 0x40f, v3
	s_or_b32 vcc_lo, s0, vcc_lo
	v_and_or_b32 v14, 0x8000, v14, v8
	s_wait_alu 0xfffe
	v_add_co_ci_u32_e32 v9, vcc_lo, 0, v9, vcc_lo
	v_lshlrev_b32_e32 v13, v13, v10
	v_cmp_gt_i32_e32 vcc_lo, 31, v30
	v_and_or_b32 v8, 0x1ff, v18, v17
	v_lshl_or_b32 v17, v3, 12, v15
	v_and_b32_e32 v14, 0xffff, v14
	s_wait_alu 0xfffd
	v_cndmask_b32_e32 v25, 0x7c00, v9, vcc_lo
	v_cmp_ne_u32_e32 vcc_lo, v13, v7
	s_wait_alu 0xfffd
	v_cndmask_b32_e64 v7, 0, 1, vcc_lo
	v_cmp_ne_u32_e32 vcc_lo, 0, v11
	s_delay_alu instid0(VALU_DEP_2)
	v_or_b32_e32 v13, v10, v7
	s_wait_alu 0xfffd
	v_cndmask_b32_e64 v11, 0, 1, vcc_lo
	v_cmp_ne_u32_e32 vcc_lo, 0, v8
	v_cvt_f64_f32_e32 v[7:8], v0
	v_lshrrev_b32_e32 v0, 8, v18
	v_mul_f64_e32 v[9:10], s[8:9], v[19:20]
	v_lshl_or_b32 v11, v11, 9, 0x7c00
	s_wait_alu 0xfffd
	v_cndmask_b32_e64 v26, 0, 1, vcc_lo
	v_cmp_gt_i32_e32 vcc_lo, 1, v3
	v_lshrrev_b32_e32 v20, 16, v12
	v_lshrrev_b32_e32 v18, 16, v18
	s_delay_alu instid0(VALU_DEP_4)
	v_and_or_b32 v0, 0xffe, v0, v26
	s_wait_alu 0xfffd
	v_cndmask_b32_e32 v13, v17, v13, vcc_lo
	v_sub_nc_u32_e32 v17, 0x3f1, v27
	v_cmp_eq_u32_e32 vcc_lo, 0x40f, v30
	v_or_b32_e32 v26, 0x1000, v0
	s_delay_alu instid0(VALU_DEP_3)
	v_med3_i32 v17, v17, 0, 13
	s_wait_alu 0xfffd
	v_cndmask_b32_e32 v19, v25, v11, vcc_lo
	v_and_b32_e32 v25, 7, v13
	v_add_co_u32 v11, vcc_lo, v23, v21
	s_wait_alu 0xfffd
	v_add_co_ci_u32_e32 v12, vcc_lo, v24, v22, vcc_lo
	v_and_or_b32 v19, 0x8000, v20, v19
	v_lshrrev_b32_e32 v20, v17, v26
	v_cmp_lt_i32_e32 vcc_lo, 5, v25
	v_cmp_eq_u32_e64 s0, 3, v25
	global_store_b32 v[11:12], v5, off
	v_lshrrev_b32_e32 v5, 2, v13
	v_lshlrev_b32_e32 v13, v17, v20
	v_lshl_or_b32 v17, v19, 16, v14
	s_or_b32 vcc_lo, s0, vcc_lo
	v_add_nc_u32_e32 v19, 0xfffffc10, v27
	s_wait_alu 0xfffe
	v_add_co_ci_u32_e32 v5, vcc_lo, 0, v5, vcc_lo
	v_cmp_ne_u32_e32 vcc_lo, v13, v26
	s_delay_alu instid0(VALU_DEP_3)
	v_lshl_or_b32 v14, v19, 12, v0
	v_mul_f64_e32 v[7:8], s[8:9], v[7:8]
	s_wait_alu 0xfffd
	v_cndmask_b32_e64 v13, 0, 1, vcc_lo
	v_cmp_gt_i32_e32 vcc_lo, 31, v3
	v_and_or_b32 v9, 0x1ff, v10, v9
	v_bfe_u32 v23, v10, 20, 11
	s_delay_alu instid0(VALU_DEP_4)
	v_or_b32_e32 v13, v20, v13
	s_wait_alu 0xfffd
	v_cndmask_b32_e32 v5, 0x7c00, v5, vcc_lo
	v_cmp_ne_u32_e32 vcc_lo, 0, v15
	v_lshrrev_b32_e32 v20, 16, v6
	v_sub_nc_u32_e32 v24, 0x3f1, v23
	s_wait_alu 0xfffd
	v_cndmask_b32_e64 v15, 0, 1, vcc_lo
	v_cmp_gt_i32_e32 vcc_lo, 1, v19
	v_mul_f16_e32 v21, v46, v20
	v_med3_i32 v24, v24, 0, 13
	s_delay_alu instid0(VALU_DEP_4)
	v_lshl_or_b32 v15, v15, 9, 0x7c00
	s_wait_alu 0xfffd
	v_cndmask_b32_e32 v22, v14, v13, vcc_lo
	v_cmp_ne_u32_e32 vcc_lo, 0, v9
	v_fmac_f16_e32 v21, v45, v6
	v_lshrrev_b32_e32 v13, 8, v10
	v_mul_f16_e32 v6, v46, v6
	v_and_b32_e32 v14, 7, v22
	s_wait_alu 0xfffd
	v_cndmask_b32_e64 v9, 0, 1, vcc_lo
	v_cvt_f32_f16_e32 v21, v21
	v_cndmask_b32_e64 v3, v5, v15, s1
	v_lshrrev_b32_e32 v5, 2, v22
	v_cmp_lt_i32_e32 vcc_lo, 5, v14
	v_and_or_b32 v9, 0xffe, v13, v9
	v_cmp_eq_u32_e64 s0, 3, v14
	v_cvt_f64_f32_e32 v[13:14], v21
	v_lshrrev_b32_e32 v15, 16, v16
	v_lshrrev_b32_e32 v10, 16, v10
	v_or_b32_e32 v21, 0x1000, v9
	s_or_b32 vcc_lo, s0, vcc_lo
	s_wait_alu 0xfffe
	v_add_co_ci_u32_e32 v5, vcc_lo, 0, v5, vcc_lo
	s_delay_alu instid0(VALU_DEP_2) | instskip(SKIP_2) | instid1(VALU_DEP_3)
	v_lshrrev_b32_e32 v16, v24, v21
	v_and_or_b32 v3, 0x8000, v15, v3
	v_cmp_gt_i32_e32 vcc_lo, 31, v19
	v_lshlrev_b32_e32 v15, v24, v16
	s_delay_alu instid0(VALU_DEP_3)
	v_and_b32_e32 v3, 0xffff, v3
	s_wait_alu 0xfffd
	v_cndmask_b32_e32 v22, 0x7c00, v5, vcc_lo
	v_fma_f16 v5, v45, v20, -v6
	v_and_or_b32 v6, 0x1ff, v8, v7
	v_cmp_ne_u32_e32 vcc_lo, v15, v21
	v_add_nc_u32_e32 v15, 0xfffffc10, v23
	v_lshrrev_b32_e32 v21, 8, v8
	v_cvt_f32_f16_e32 v5, v5
	v_bfe_u32 v23, v8, 20, 11
	s_wait_alu 0xfffd
	v_cndmask_b32_e64 v7, 0, 1, vcc_lo
	v_cmp_ne_u32_e32 vcc_lo, 0, v6
	v_mul_f16_e32 v24, v44, v4
	v_cvt_f64_f32_e32 v[5:6], v5
	s_delay_alu instid0(VALU_DEP_4) | instskip(SKIP_4) | instid1(VALU_DEP_3)
	v_or_b32_e32 v7, v16, v7
	s_wait_alu 0xfffd
	v_cndmask_b32_e64 v20, 0, 1, vcc_lo
	v_cmp_ne_u32_e32 vcc_lo, 0, v0
	v_lshl_or_b32 v16, v15, 12, v9
	v_and_or_b32 v20, 0xffe, v21, v20
	s_wait_alu 0xfffd
	v_cndmask_b32_e64 v0, 0, 1, vcc_lo
	v_cmp_gt_i32_e32 vcc_lo, 1, v15
	v_sub_nc_u32_e32 v21, 0x3f1, v23
	v_mul_f64_e32 v[13:14], s[8:9], v[13:14]
	s_delay_alu instid0(VALU_DEP_4)
	v_lshl_or_b32 v0, v0, 9, 0x7c00
	s_wait_alu 0xfffd
	v_cndmask_b32_e32 v7, v16, v7, vcc_lo
	v_cmp_eq_u32_e32 vcc_lo, 0x40f, v19
	v_or_b32_e32 v16, 0x1000, v20
	v_med3_i32 v21, v21, 0, 13
	s_wait_alu 0xfffd
	v_dual_cndmask_b32 v0, v22, v0 :: v_dual_and_b32 v19, 7, v7
	v_add_co_u32 v11, vcc_lo, v11, s2
	s_wait_alu 0xfffd
	v_add_co_ci_u32_e32 v12, vcc_lo, s3, v12, vcc_lo
	s_delay_alu instid0(VALU_DEP_3) | instskip(SKIP_4) | instid1(VALU_DEP_4)
	v_cmp_lt_i32_e32 vcc_lo, 5, v19
	v_cmp_eq_u32_e64 s0, 3, v19
	v_lshrrev_b32_e32 v7, 2, v7
	v_lshrrev_b32_e32 v22, v21, v16
	v_and_or_b32 v0, 0x8000, v18, v0
	s_or_b32 vcc_lo, s0, vcc_lo
	s_wait_alu 0xfffe
	v_add_co_ci_u32_e32 v7, vcc_lo, 0, v7, vcc_lo
	v_lshlrev_b32_e32 v18, v21, v22
	v_cmp_ne_u32_e32 vcc_lo, 0, v9
	v_lshrrev_b32_e32 v21, 16, v4
	v_mul_f64_e32 v[5:6], s[8:9], v[5:6]
	v_lshl_or_b32 v0, v0, 16, v3
	v_cmp_ne_u32_e64 s1, v18, v16
	s_wait_alu 0xfffd
	v_cndmask_b32_e64 v9, 0, 1, vcc_lo
	s_wait_alu 0xf1ff
	s_delay_alu instid0(VALU_DEP_2) | instskip(NEXT) | instid1(VALU_DEP_2)
	v_cndmask_b32_e64 v16, 0, 1, s1
	v_lshl_or_b32 v9, v9, 9, 0x7c00
	v_add_nc_u32_e32 v18, 0xfffffc10, v23
	s_delay_alu instid0(VALU_DEP_3) | instskip(NEXT) | instid1(VALU_DEP_2)
	v_or_b32_e32 v16, v22, v16
	v_lshl_or_b32 v19, v18, 12, v20
	v_cmp_gt_i32_e32 vcc_lo, 1, v18
	s_wait_alu 0xfffd
	s_delay_alu instid0(VALU_DEP_2) | instskip(SKIP_2) | instid1(VALU_DEP_3)
	v_cndmask_b32_e32 v16, v19, v16, vcc_lo
	v_mul_f16_e32 v19, v44, v21
	v_cmp_gt_i32_e32 vcc_lo, 31, v15
	v_and_b32_e32 v3, 7, v16
	s_delay_alu instid0(VALU_DEP_3)
	v_fmac_f16_e32 v19, v43, v4
	s_wait_alu 0xfffd
	v_cndmask_b32_e32 v7, 0x7c00, v7, vcc_lo
	v_cmp_eq_u32_e32 vcc_lo, 0x40f, v15
	v_cmp_eq_u32_e64 s0, 3, v3
	s_wait_alu 0xfffd
	s_delay_alu instid0(VALU_DEP_3)
	v_cndmask_b32_e32 v9, v7, v9, vcc_lo
	v_and_or_b32 v7, 0x1ff, v14, v13
	v_cvt_f32_f16_e32 v13, v19
	v_cmp_lt_i32_e32 vcc_lo, 5, v3
	v_lshrrev_b32_e32 v3, 2, v16
	v_bfe_u32 v19, v14, 20, 11
	v_cmp_ne_u32_e64 s1, 0, v7
	v_cvt_f64_f32_e32 v[15:16], v13
	s_or_b32 vcc_lo, s0, vcc_lo
	v_lshrrev_b32_e32 v13, 8, v14
	s_wait_alu 0xfffe
	v_add_co_ci_u32_e32 v3, vcc_lo, 0, v3, vcc_lo
	v_cndmask_b32_e64 v7, 0, 1, s1
	v_cmp_ne_u32_e32 vcc_lo, 0, v20
	v_and_or_b32 v5, 0x1ff, v6, v5
	v_and_or_b32 v9, 0x8000, v10, v9
	v_lshrrev_b32_e32 v10, 8, v6
	v_and_or_b32 v13, 0xffe, v13, v7
	s_wait_alu 0xfffd
	v_cndmask_b32_e64 v20, 0, 1, vcc_lo
	v_sub_nc_u32_e32 v7, 0x3f1, v19
	v_cmp_gt_i32_e32 vcc_lo, 31, v18
	v_add_nc_u32_e32 v19, 0xfffffc10, v19
	v_or_b32_e32 v22, 0x1000, v13
	v_lshl_or_b32 v20, v20, 9, 0x7c00
	v_med3_i32 v23, v7, 0, 13
	s_wait_alu 0xfffd
	v_cndmask_b32_e32 v3, 0x7c00, v3, vcc_lo
	v_cmp_eq_u32_e32 vcc_lo, 0x40f, v18
	v_lshrrev_b32_e32 v18, 16, v8
	v_cmp_ne_u32_e64 s1, 0, v13
	s_wait_alu 0xfffd
	v_cndmask_b32_e32 v3, v3, v20, vcc_lo
	v_lshrrev_b32_e32 v20, v23, v22
	v_add_co_u32 v7, vcc_lo, v11, s2
	s_wait_alu 0xfffd
	v_add_co_ci_u32_e32 v8, vcc_lo, s3, v12, vcc_lo
	v_and_or_b32 v18, 0x8000, v18, v3
	v_lshlrev_b32_e32 v3, v23, v20
	v_cmp_ne_u32_e32 vcc_lo, 0, v5
	v_bfe_u32 v23, v6, 20, 11
	s_clause 0x1
	global_store_b32 v[11:12], v17, off
	global_store_b32 v[7:8], v0, off
	v_lshrrev_b32_e32 v17, 16, v2
	s_wait_alu 0xfffd
	v_cndmask_b32_e64 v5, 0, 1, vcc_lo
	v_cmp_ne_u32_e32 vcc_lo, v3, v22
	v_mul_f64_e32 v[3:4], s[8:9], v[15:16]
	v_fma_f16 v15, v43, v21, -v24
	v_mul_f16_e32 v12, v42, v17
	v_and_or_b32 v5, 0xffe, v10, v5
	s_wait_alu 0xfffd
	v_cndmask_b32_e64 v22, 0, 1, vcc_lo
	v_sub_nc_u32_e32 v10, 0x3f1, v23
	v_cmp_gt_i32_e32 vcc_lo, 1, v19
	v_fmac_f16_e32 v12, v41, v2
	v_or_b32_e32 v21, 0x1000, v5
	v_or_b32_e32 v16, v20, v22
	v_lshl_or_b32 v20, v19, 12, v13
	v_med3_i32 v22, v10, 0, 13
	v_cvt_f32_f16_e32 v10, v15
	v_and_b32_e32 v15, 0xffff, v9
	v_cvt_f32_f16_e32 v12, v12
	s_wait_alu 0xfffd
	v_cndmask_b32_e32 v16, v20, v16, vcc_lo
	v_lshrrev_b32_e32 v20, v22, v21
	v_cvt_f64_f32_e32 v[9:10], v10
	v_add_co_u32 v7, vcc_lo, v7, s2
	s_delay_alu instid0(VALU_DEP_4) | instskip(NEXT) | instid1(VALU_DEP_4)
	v_and_b32_e32 v0, 7, v16
	v_lshlrev_b32_e32 v11, v22, v20
	s_wait_alu 0xfffd
	v_add_co_ci_u32_e32 v8, vcc_lo, s3, v8, vcc_lo
	v_lshl_or_b32 v15, v18, 16, v15
	v_add_nc_u32_e32 v18, 0xfffffc10, v23
	v_cmp_ne_u32_e64 s0, v11, v21
	v_cmp_lt_i32_e32 vcc_lo, 5, v0
	s_wait_alu 0xf1ff
	v_cndmask_b32_e64 v13, 0, 1, s1
	v_mul_f16_e32 v2, v42, v2
	v_cndmask_b32_e64 v11, 0, 1, s0
	v_cmp_eq_u32_e64 s0, 3, v0
	v_lshrrev_b32_e32 v0, 2, v16
	v_lshl_or_b32 v16, v18, 12, v5
	v_lshl_or_b32 v13, v13, 9, 0x7c00
	v_or_b32_e32 v11, v20, v11
	s_or_b32 vcc_lo, s0, vcc_lo
	v_and_or_b32 v3, 0x1ff, v4, v3
	s_wait_alu 0xfffe
	v_add_co_ci_u32_e32 v0, vcc_lo, 0, v0, vcc_lo
	v_cmp_gt_i32_e32 vcc_lo, 1, v18
	v_lshrrev_b32_e32 v21, 8, v4
	v_bfe_u32 v22, v4, 20, 11
	v_fma_f16 v2, v41, v17, -v2
	v_lshrrev_b32_e32 v4, 16, v4
	s_wait_alu 0xfffd
	v_cndmask_b32_e32 v16, v16, v11, vcc_lo
	v_cvt_f64_f32_e32 v[11:12], v12
	v_cmp_gt_i32_e32 vcc_lo, 31, v19
	s_delay_alu instid0(VALU_DEP_3)
	v_and_b32_e32 v20, 7, v16
	v_lshrrev_b32_e32 v16, 2, v16
	s_wait_alu 0xfffd
	v_cndmask_b32_e32 v0, 0x7c00, v0, vcc_lo
	v_cmp_ne_u32_e32 vcc_lo, 0, v3
	v_mul_f64_e32 v[9:10], s[8:9], v[9:10]
	v_cmp_eq_u32_e64 s0, 3, v20
	s_wait_alu 0xfffd
	v_cndmask_b32_e64 v3, 0, 1, vcc_lo
	v_cmp_lt_i32_e32 vcc_lo, 5, v20
	s_delay_alu instid0(VALU_DEP_2)
	v_and_or_b32 v20, 0xffe, v21, v3
	s_or_b32 vcc_lo, s0, vcc_lo
	v_sub_nc_u32_e32 v3, 0x3f1, v22
	s_wait_alu 0xfffe
	v_add_co_ci_u32_e32 v16, vcc_lo, 0, v16, vcc_lo
	v_cmp_ne_u32_e32 vcc_lo, 0, v5
	v_or_b32_e32 v21, 0x1000, v20
	v_med3_i32 v3, v3, 0, 13
	s_mul_i32 s0, s5, 0xffffee80
	s_wait_alu 0xfffd
	v_cndmask_b32_e64 v5, 0, 1, vcc_lo
	v_cmp_gt_i32_e32 vcc_lo, 31, v18
	v_lshrrev_b32_e32 v23, v3, v21
	s_wait_alu 0xfffe
	s_sub_co_i32 s1, s0, s4
	v_lshl_or_b32 v5, v5, 9, 0x7c00
	s_wait_alu 0xfffd
	v_dual_cndmask_b32 v16, 0x7c00, v16 :: v_dual_lshlrev_b32 v3, v3, v23
	v_cmp_eq_u32_e32 vcc_lo, 0x40f, v19
	s_wait_alu 0xfffd
	v_cndmask_b32_e32 v0, v0, v13, vcc_lo
	v_cmp_eq_u32_e32 vcc_lo, 0x40f, v18
	v_lshrrev_b32_e32 v13, 16, v14
	v_add_nc_u32_e32 v18, 0xfffffc10, v22
	s_wait_alu 0xfffd
	v_cndmask_b32_e32 v14, v16, v5, vcc_lo
	v_lshrrev_b32_e32 v16, 16, v6
	v_cmp_ne_u32_e32 vcc_lo, v3, v21
	v_mul_f64_e32 v[5:6], s[8:9], v[11:12]
	v_and_or_b32 v0, 0x8000, v13, v0
	v_lshl_or_b32 v11, v18, 12, v20
	v_and_or_b32 v9, 0x1ff, v10, v9
	s_wait_alu 0xfffd
	v_cndmask_b32_e64 v3, 0, 1, vcc_lo
	v_cmp_gt_i32_e32 vcc_lo, 1, v18
	v_and_b32_e32 v17, 0xffff, v0
	v_lshrrev_b32_e32 v21, 16, v1
	v_and_or_b32 v16, 0x8000, v16, v14
	v_or_b32_e32 v3, v23, v3
	v_lshrrev_b32_e32 v14, 8, v10
	v_bfe_u32 v19, v10, 20, 11
	v_mul_f16_e32 v22, v40, v21
	v_lshl_or_b32 v16, v16, 16, v17
	s_wait_alu 0xfffd
	v_cndmask_b32_e32 v0, v11, v3, vcc_lo
	v_cvt_f32_f16_e32 v11, v2
	v_cmp_ne_u32_e32 vcc_lo, 0, v9
	v_fmac_f16_e32 v22, v39, v1
	v_mul_f16_e32 v1, v40, v1
	v_and_b32_e32 v13, 7, v0
	v_cvt_f64_f32_e32 v[11:12], v11
	s_wait_alu 0xfffd
	v_cndmask_b32_e64 v9, 0, 1, vcc_lo
	v_lshrrev_b32_e32 v0, 2, v0
	v_fma_f16 v21, v39, v21, -v1
	v_cmp_lt_i32_e32 vcc_lo, 5, v13
	v_cmp_eq_u32_e64 s0, 3, v13
	v_and_or_b32 v9, 0xffe, v14, v9
	v_sub_nc_u32_e32 v14, 0x3f1, v19
	v_cvt_f32_f16_e32 v13, v22
	v_add_nc_u32_e32 v19, 0xfffffc10, v19
	s_or_b32 vcc_lo, s0, vcc_lo
	v_or_b32_e32 v23, 0x1000, v9
	s_wait_alu 0xfffe
	v_add_co_ci_u32_e32 v0, vcc_lo, 0, v0, vcc_lo
	v_med3_i32 v24, v14, 0, 13
	v_cmp_ne_u32_e32 vcc_lo, 0, v20
	v_cvt_f64_f32_e32 v[13:14], v13
	v_mad_co_u64_u32 v[2:3], null, 0xffffee80, s4, v[7:8]
	s_delay_alu instid0(VALU_DEP_4)
	v_lshrrev_b32_e32 v22, v24, v23
	s_wait_alu 0xfffd
	v_cndmask_b32_e64 v20, 0, 1, vcc_lo
	v_and_or_b32 v5, 0x1ff, v6, v5
	v_cmp_gt_i32_e32 vcc_lo, 31, v18
	v_bfe_u32 v26, v6, 20, 11
	s_delay_alu instid0(VALU_DEP_4)
	v_lshl_or_b32 v20, v20, 9, 0x7c00
	v_add_nc_u32_e32 v3, s1, v3
	s_wait_alu 0xfffd
	v_dual_cndmask_b32 v25, 0x7c00, v0 :: v_dual_lshlrev_b32 v0, v24, v22
	v_cmp_ne_u32_e32 vcc_lo, 0, v5
	v_lshrrev_b32_e32 v24, 8, v6
	v_lshrrev_b32_e32 v6, 16, v6
	s_wait_alu 0xfffd
	v_cndmask_b32_e64 v5, 0, 1, vcc_lo
	v_cmp_ne_u32_e32 vcc_lo, v0, v23
	v_mul_f64_e32 v[0:1], s[8:9], v[11:12]
	v_cvt_f32_f16_e32 v11, v21
	s_wait_alu 0xfffd
	v_cndmask_b32_e64 v23, 0, 1, vcc_lo
	v_cmp_gt_i32_e32 vcc_lo, 1, v19
	v_and_or_b32 v24, 0xffe, v24, v5
	v_sub_nc_u32_e32 v5, 0x3f1, v26
	v_cvt_f64_f32_e32 v[11:12], v11
	v_or_b32_e32 v21, v22, v23
	v_lshl_or_b32 v22, v19, 12, v9
	v_or_b32_e32 v23, 0x1000, v24
	v_med3_i32 v5, v5, 0, 13
	s_wait_alu 0xfffd
	s_delay_alu instid0(VALU_DEP_3) | instskip(SKIP_1) | instid1(VALU_DEP_2)
	v_cndmask_b32_e32 v21, v22, v21, vcc_lo
	v_cmp_eq_u32_e32 vcc_lo, 0x40f, v18
	v_and_b32_e32 v22, 7, v21
	s_wait_alu 0xfffd
	v_cndmask_b32_e32 v18, v25, v20, vcc_lo
	v_lshrrev_b32_e32 v20, v5, v23
	s_delay_alu instid0(VALU_DEP_3) | instskip(SKIP_1) | instid1(VALU_DEP_3)
	v_cmp_lt_i32_e32 vcc_lo, 5, v22
	v_cmp_eq_u32_e64 s0, 3, v22
	v_lshlrev_b32_e32 v5, v5, v20
	v_and_or_b32 v17, 0x8000, v4, v18
	v_lshrrev_b32_e32 v18, 2, v21
	v_add_nc_u32_e32 v22, 0xfffffc10, v26
	s_or_b32 vcc_lo, s0, vcc_lo
	v_cmp_ne_u32_e64 s1, v5, v23
	v_mul_f64_e32 v[4:5], s[8:9], v[13:14]
	s_wait_alu 0xfffe
	v_add_co_ci_u32_e32 v13, vcc_lo, 0, v18, vcc_lo
	v_cmp_ne_u32_e32 vcc_lo, 0, v9
	s_wait_alu 0xf1ff
	v_cndmask_b32_e64 v21, 0, 1, s1
	v_lshl_or_b32 v18, v22, 12, v24
	v_and_or_b32 v0, 0x1ff, v1, v0
	s_wait_alu 0xfffd
	v_cndmask_b32_e64 v9, 0, 1, vcc_lo
	v_cmp_gt_i32_e32 vcc_lo, 31, v19
	v_or_b32_e32 v14, v20, v21
	v_lshrrev_b32_e32 v20, 8, v1
	s_delay_alu instid0(VALU_DEP_4)
	v_lshl_or_b32 v9, v9, 9, 0x7c00
	s_wait_alu 0xfffd
	v_cndmask_b32_e32 v13, 0x7c00, v13, vcc_lo
	v_cmp_gt_i32_e32 vcc_lo, 1, v22
	s_wait_alu 0xfffd
	v_cndmask_b32_e32 v14, v18, v14, vcc_lo
	v_cmp_eq_u32_e32 vcc_lo, 0x40f, v19
	v_lshrrev_b32_e32 v18, 16, v10
	s_delay_alu instid0(VALU_DEP_3)
	v_and_b32_e32 v19, 7, v14
	s_wait_alu 0xfffd
	v_cndmask_b32_e32 v13, v13, v9, vcc_lo
	v_cmp_ne_u32_e32 vcc_lo, 0, v0
	v_mul_f64_e32 v[9:10], s[8:9], v[11:12]
	v_bfe_u32 v11, v1, 20, 11
	v_cmp_eq_u32_e64 s0, 3, v19
	v_and_or_b32 v12, 0x8000, v18, v13
	v_and_b32_e32 v13, 0xffff, v17
	s_wait_alu 0xfffd
	v_cndmask_b32_e64 v0, 0, 1, vcc_lo
	v_cmp_lt_i32_e32 vcc_lo, 5, v19
	v_sub_nc_u32_e32 v17, 0x3f1, v11
	v_add_nc_u32_e32 v11, 0xfffffc10, v11
	v_lshl_or_b32 v12, v12, 16, v13
	v_lshrrev_b32_e32 v13, 2, v14
	v_and_or_b32 v0, 0xffe, v20, v0
	s_or_b32 vcc_lo, s0, vcc_lo
	v_med3_i32 v17, v17, 0, 13
	v_and_or_b32 v4, 0x1ff, v5, v4
	s_wait_alu 0xfffe
	v_add_co_ci_u32_e32 v13, vcc_lo, 0, v13, vcc_lo
	v_or_b32_e32 v14, 0x1000, v0
	v_cmp_ne_u32_e32 vcc_lo, 0, v24
	v_lshrrev_b32_e32 v20, 8, v5
	v_bfe_u32 v21, v5, 20, 11
	v_lshrrev_b32_e32 v1, 16, v1
	v_lshrrev_b32_e32 v19, v17, v14
	s_wait_alu 0xfffd
	v_cndmask_b32_e64 v18, 0, 1, vcc_lo
	v_cmp_gt_i32_e32 vcc_lo, 31, v22
	v_lshrrev_b32_e32 v5, 16, v5
	v_lshlrev_b32_e32 v17, v17, v19
	s_delay_alu instid0(VALU_DEP_4)
	v_lshl_or_b32 v18, v18, 9, 0x7c00
	s_wait_alu 0xfffd
	v_cndmask_b32_e32 v13, 0x7c00, v13, vcc_lo
	v_cmp_ne_u32_e32 vcc_lo, 0, v4
	s_wait_alu 0xfffd
	v_cndmask_b32_e64 v4, 0, 1, vcc_lo
	v_cmp_ne_u32_e32 vcc_lo, v17, v14
	v_sub_nc_u32_e32 v17, 0x3f1, v21
	v_and_or_b32 v9, 0x1ff, v10, v9
	s_delay_alu instid0(VALU_DEP_4)
	v_and_or_b32 v4, 0xffe, v20, v4
	s_wait_alu 0xfffd
	v_cndmask_b32_e64 v14, 0, 1, vcc_lo
	v_cmp_eq_u32_e32 vcc_lo, 0x40f, v22
	v_med3_i32 v17, v17, 0, 13
	v_lshrrev_b32_e32 v20, 8, v10
	v_bfe_u32 v22, v10, 20, 11
	v_or_b32_e32 v14, v19, v14
	s_wait_alu 0xfffd
	v_cndmask_b32_e32 v13, v13, v18, vcc_lo
	v_lshl_or_b32 v18, v11, 12, v0
	v_or_b32_e32 v19, 0x1000, v4
	v_cmp_gt_i32_e32 vcc_lo, 1, v11
	s_delay_alu instid0(VALU_DEP_4)
	v_and_or_b32 v6, 0x8000, v6, v13
	v_sub_nc_u32_e32 v13, 0x3f1, v22
	s_wait_alu 0xfffd
	v_cndmask_b32_e32 v14, v18, v14, vcc_lo
	v_lshrrev_b32_e32 v18, v17, v19
	v_cmp_ne_u32_e32 vcc_lo, 0, v9
	v_med3_i32 v13, v13, 0, 13
	s_delay_alu instid0(VALU_DEP_4) | instskip(NEXT) | instid1(VALU_DEP_4)
	v_and_b32_e32 v23, 7, v14
	v_lshlrev_b32_e32 v17, v17, v18
	s_wait_alu 0xfffd
	v_cndmask_b32_e64 v9, 0, 1, vcc_lo
	v_lshrrev_b32_e32 v14, 2, v14
	v_cmp_lt_i32_e32 vcc_lo, 5, v23
	v_cmp_ne_u32_e64 s0, v17, v19
	s_delay_alu instid0(VALU_DEP_4) | instskip(SKIP_2) | instid1(VALU_DEP_3)
	v_and_or_b32 v9, 0xffe, v20, v9
	v_add_nc_u32_e32 v20, 0xfffffc10, v21
	s_wait_alu 0xf1ff
	v_cndmask_b32_e64 v17, 0, 1, s0
	v_cmp_eq_u32_e64 s0, 3, v23
	v_or_b32_e32 v19, 0x1000, v9
	v_lshl_or_b32 v21, v20, 12, v4
	s_delay_alu instid0(VALU_DEP_4) | instskip(NEXT) | instid1(VALU_DEP_4)
	v_or_b32_e32 v17, v18, v17
	s_or_b32 vcc_lo, s0, vcc_lo
	s_delay_alu instid0(VALU_DEP_3) | instskip(SKIP_3) | instid1(VALU_DEP_3)
	v_lshrrev_b32_e32 v18, v13, v19
	s_wait_alu 0xfffe
	v_add_co_ci_u32_e32 v14, vcc_lo, 0, v14, vcc_lo
	v_cmp_gt_i32_e32 vcc_lo, 1, v20
	v_lshlrev_b32_e32 v13, v13, v18
	s_wait_alu 0xfffd
	v_cndmask_b32_e32 v17, v21, v17, vcc_lo
	v_cmp_ne_u32_e32 vcc_lo, 0, v0
	s_delay_alu instid0(VALU_DEP_2)
	v_and_b32_e32 v21, 7, v17
	s_wait_alu 0xfffd
	v_cndmask_b32_e64 v0, 0, 1, vcc_lo
	v_cmp_ne_u32_e32 vcc_lo, v13, v19
	v_add_nc_u32_e32 v19, 0xfffffc10, v22
	v_cmp_eq_u32_e64 s0, 3, v21
	s_delay_alu instid0(VALU_DEP_4) | instskip(SKIP_4) | instid1(VALU_DEP_3)
	v_lshl_or_b32 v0, v0, 9, 0x7c00
	s_wait_alu 0xfffd
	v_cndmask_b32_e64 v13, 0, 1, vcc_lo
	v_cmp_gt_i32_e32 vcc_lo, 31, v11
	v_cmp_gt_i32_e64 s1, 1, v19
	v_or_b32_e32 v13, v18, v13
	v_lshl_or_b32 v18, v19, 12, v9
	s_wait_alu 0xfffd
	v_cndmask_b32_e32 v14, 0x7c00, v14, vcc_lo
	v_cmp_lt_i32_e32 vcc_lo, 5, v21
	s_wait_alu 0xf1ff
	v_cndmask_b32_e64 v13, v18, v13, s1
	v_cmp_eq_u32_e64 s1, 0x40f, v11
	v_lshrrev_b32_e32 v11, 2, v17
	s_or_b32 vcc_lo, s0, vcc_lo
	s_delay_alu instid0(VALU_DEP_2) | instskip(SKIP_1) | instid1(VALU_DEP_2)
	v_cndmask_b32_e64 v0, v14, v0, s1
	s_wait_alu 0xfffe
	v_add_co_ci_u32_e32 v11, vcc_lo, 0, v11, vcc_lo
	v_and_b32_e32 v14, 7, v13
	v_cmp_ne_u32_e32 vcc_lo, 0, v4
	v_lshrrev_b32_e32 v13, 2, v13
	v_cmp_gt_i32_e64 s1, 31, v20
	s_delay_alu instid0(VALU_DEP_4)
	v_cmp_eq_u32_e64 s0, 3, v14
	s_wait_alu 0xfffd
	v_cndmask_b32_e64 v4, 0, 1, vcc_lo
	v_cmp_lt_i32_e32 vcc_lo, 5, v14
	s_wait_alu 0xf1ff
	v_cndmask_b32_e64 v11, 0x7c00, v11, s1
	s_delay_alu instid0(VALU_DEP_3)
	v_lshl_or_b32 v4, v4, 9, 0x7c00
	s_or_b32 vcc_lo, s0, vcc_lo
	s_wait_alu 0xfffe
	v_add_co_ci_u32_e32 v13, vcc_lo, 0, v13, vcc_lo
	v_cmp_ne_u32_e32 vcc_lo, 0, v9
	s_wait_alu 0xfffd
	v_cndmask_b32_e64 v9, 0, 1, vcc_lo
	v_cmp_eq_u32_e32 vcc_lo, 0x40f, v20
	s_delay_alu instid0(VALU_DEP_2) | instskip(SKIP_3) | instid1(VALU_DEP_2)
	v_lshl_or_b32 v9, v9, 9, 0x7c00
	s_wait_alu 0xfffd
	v_cndmask_b32_e32 v4, v11, v4, vcc_lo
	v_cmp_gt_i32_e32 vcc_lo, 31, v19
	v_and_or_b32 v4, 0x8000, v5, v4
	s_wait_alu 0xfffd
	v_cndmask_b32_e32 v11, 0x7c00, v13, vcc_lo
	v_cmp_eq_u32_e32 vcc_lo, 0x40f, v19
	v_and_or_b32 v13, 0x8000, v1, v0
	s_wait_alu 0xfffd
	s_delay_alu instid0(VALU_DEP_3) | instskip(SKIP_4) | instid1(VALU_DEP_3)
	v_dual_cndmask_b32 v5, v11, v9 :: v_dual_and_b32 v6, 0xffff, v6
	v_lshrrev_b32_e32 v9, 16, v10
	v_add_co_u32 v0, vcc_lo, v2, s2
	s_wait_alu 0xfffd
	v_add_co_ci_u32_e32 v1, vcc_lo, s3, v3, vcc_lo
	v_and_or_b32 v9, 0x8000, v9, v5
	v_and_b32_e32 v10, 0xffff, v4
	v_add_co_u32 v4, vcc_lo, v0, s2
	s_wait_alu 0xfffd
	v_add_co_ci_u32_e32 v5, vcc_lo, s3, v1, vcc_lo
	s_delay_alu instid0(VALU_DEP_3) | instskip(NEXT) | instid1(VALU_DEP_3)
	v_lshl_or_b32 v11, v9, 16, v10
	v_add_co_u32 v9, vcc_lo, v4, s2
	v_lshl_or_b32 v6, v13, 16, v6
	s_wait_alu 0xfffd
	v_add_co_ci_u32_e32 v10, vcc_lo, s3, v5, vcc_lo
	s_clause 0x1
	global_store_b32 v[7:8], v15, off
	global_store_b32 v[2:3], v16, off
	;; [unrolled: 1-line block ×5, first 2 shown]
.LBB0_10:
	s_nop 0
	s_sendmsg sendmsg(MSG_DEALLOC_VGPRS)
	s_endpgm
	.section	.rodata,"a",@progbits
	.p2align	6, 0x0
	.amdhsa_kernel bluestein_single_fwd_len1792_dim1_half_op_CI_CI
		.amdhsa_group_segment_fixed_size 7168
		.amdhsa_private_segment_fixed_size 0
		.amdhsa_kernarg_size 104
		.amdhsa_user_sgpr_count 2
		.amdhsa_user_sgpr_dispatch_ptr 0
		.amdhsa_user_sgpr_queue_ptr 0
		.amdhsa_user_sgpr_kernarg_segment_ptr 1
		.amdhsa_user_sgpr_dispatch_id 0
		.amdhsa_user_sgpr_private_segment_size 0
		.amdhsa_wavefront_size32 1
		.amdhsa_uses_dynamic_stack 0
		.amdhsa_enable_private_segment 0
		.amdhsa_system_sgpr_workgroup_id_x 1
		.amdhsa_system_sgpr_workgroup_id_y 0
		.amdhsa_system_sgpr_workgroup_id_z 0
		.amdhsa_system_sgpr_workgroup_info 0
		.amdhsa_system_vgpr_workitem_id 0
		.amdhsa_next_free_vgpr 124
		.amdhsa_next_free_sgpr 20
		.amdhsa_reserve_vcc 1
		.amdhsa_float_round_mode_32 0
		.amdhsa_float_round_mode_16_64 0
		.amdhsa_float_denorm_mode_32 3
		.amdhsa_float_denorm_mode_16_64 3
		.amdhsa_fp16_overflow 0
		.amdhsa_workgroup_processor_mode 1
		.amdhsa_memory_ordered 1
		.amdhsa_forward_progress 0
		.amdhsa_round_robin_scheduling 0
		.amdhsa_exception_fp_ieee_invalid_op 0
		.amdhsa_exception_fp_denorm_src 0
		.amdhsa_exception_fp_ieee_div_zero 0
		.amdhsa_exception_fp_ieee_overflow 0
		.amdhsa_exception_fp_ieee_underflow 0
		.amdhsa_exception_fp_ieee_inexact 0
		.amdhsa_exception_int_div_zero 0
	.end_amdhsa_kernel
	.text
.Lfunc_end0:
	.size	bluestein_single_fwd_len1792_dim1_half_op_CI_CI, .Lfunc_end0-bluestein_single_fwd_len1792_dim1_half_op_CI_CI
                                        ; -- End function
	.section	.AMDGPU.csdata,"",@progbits
; Kernel info:
; codeLenInByte = 14276
; NumSgprs: 22
; NumVgprs: 124
; ScratchSize: 0
; MemoryBound: 0
; FloatMode: 240
; IeeeMode: 1
; LDSByteSize: 7168 bytes/workgroup (compile time only)
; SGPRBlocks: 2
; VGPRBlocks: 15
; NumSGPRsForWavesPerEU: 22
; NumVGPRsForWavesPerEU: 124
; Occupancy: 10
; WaveLimiterHint : 1
; COMPUTE_PGM_RSRC2:SCRATCH_EN: 0
; COMPUTE_PGM_RSRC2:USER_SGPR: 2
; COMPUTE_PGM_RSRC2:TRAP_HANDLER: 0
; COMPUTE_PGM_RSRC2:TGID_X_EN: 1
; COMPUTE_PGM_RSRC2:TGID_Y_EN: 0
; COMPUTE_PGM_RSRC2:TGID_Z_EN: 0
; COMPUTE_PGM_RSRC2:TIDIG_COMP_CNT: 0
	.text
	.p2alignl 7, 3214868480
	.fill 96, 4, 3214868480
	.type	__hip_cuid_52453fe9a3f1edd7,@object ; @__hip_cuid_52453fe9a3f1edd7
	.section	.bss,"aw",@nobits
	.globl	__hip_cuid_52453fe9a3f1edd7
__hip_cuid_52453fe9a3f1edd7:
	.byte	0                               ; 0x0
	.size	__hip_cuid_52453fe9a3f1edd7, 1

	.ident	"AMD clang version 19.0.0git (https://github.com/RadeonOpenCompute/llvm-project roc-6.4.0 25133 c7fe45cf4b819c5991fe208aaa96edf142730f1d)"
	.section	".note.GNU-stack","",@progbits
	.addrsig
	.addrsig_sym __hip_cuid_52453fe9a3f1edd7
	.amdgpu_metadata
---
amdhsa.kernels:
  - .args:
      - .actual_access:  read_only
        .address_space:  global
        .offset:         0
        .size:           8
        .value_kind:     global_buffer
      - .actual_access:  read_only
        .address_space:  global
        .offset:         8
        .size:           8
        .value_kind:     global_buffer
      - .actual_access:  read_only
        .address_space:  global
        .offset:         16
        .size:           8
        .value_kind:     global_buffer
      - .actual_access:  read_only
        .address_space:  global
        .offset:         24
        .size:           8
        .value_kind:     global_buffer
      - .actual_access:  read_only
        .address_space:  global
        .offset:         32
        .size:           8
        .value_kind:     global_buffer
      - .offset:         40
        .size:           8
        .value_kind:     by_value
      - .address_space:  global
        .offset:         48
        .size:           8
        .value_kind:     global_buffer
      - .address_space:  global
        .offset:         56
        .size:           8
        .value_kind:     global_buffer
      - .address_space:  global
        .offset:         64
        .size:           8
        .value_kind:     global_buffer
      - .address_space:  global
        .offset:         72
        .size:           8
        .value_kind:     global_buffer
      - .offset:         80
        .size:           4
        .value_kind:     by_value
      - .address_space:  global
        .offset:         88
        .size:           8
        .value_kind:     global_buffer
      - .address_space:  global
        .offset:         96
        .size:           8
        .value_kind:     global_buffer
    .group_segment_fixed_size: 7168
    .kernarg_segment_align: 8
    .kernarg_segment_size: 104
    .language:       OpenCL C
    .language_version:
      - 2
      - 0
    .max_flat_workgroup_size: 224
    .name:           bluestein_single_fwd_len1792_dim1_half_op_CI_CI
    .private_segment_fixed_size: 0
    .sgpr_count:     22
    .sgpr_spill_count: 0
    .symbol:         bluestein_single_fwd_len1792_dim1_half_op_CI_CI.kd
    .uniform_work_group_size: 1
    .uses_dynamic_stack: false
    .vgpr_count:     124
    .vgpr_spill_count: 0
    .wavefront_size: 32
    .workgroup_processor_mode: 1
amdhsa.target:   amdgcn-amd-amdhsa--gfx1201
amdhsa.version:
  - 1
  - 2
...

	.end_amdgpu_metadata
